;; amdgpu-corpus repo=ROCm/rocFFT kind=compiled arch=gfx906 opt=O3
	.text
	.amdgcn_target "amdgcn-amd-amdhsa--gfx906"
	.amdhsa_code_object_version 6
	.protected	bluestein_single_fwd_len1360_dim1_half_op_CI_CI ; -- Begin function bluestein_single_fwd_len1360_dim1_half_op_CI_CI
	.globl	bluestein_single_fwd_len1360_dim1_half_op_CI_CI
	.p2align	8
	.type	bluestein_single_fwd_len1360_dim1_half_op_CI_CI,@function
bluestein_single_fwd_len1360_dim1_half_op_CI_CI: ; @bluestein_single_fwd_len1360_dim1_half_op_CI_CI
; %bb.0:
	s_mov_b64 s[38:39], s[2:3]
	v_mul_u32_u24_e32 v1, 0x304, v0
	s_mov_b64 s[36:37], s[0:1]
	s_load_dwordx4 s[0:3], s[4:5], 0x28
	v_lshrrev_b32_e32 v1, 16, v1
	s_add_u32 s36, s36, s7
	v_mad_u64_u32 v[31:32], s[6:7], s6, 3, v[1:2]
	v_mov_b32_e32 v32, 0
	s_addc_u32 s37, s37, 0
	s_waitcnt lgkmcnt(0)
	v_cmp_gt_u64_e32 vcc, s[0:1], v[31:32]
	s_and_saveexec_b64 s[0:1], vcc
	s_cbranch_execz .LBB0_23
; %bb.1:
	s_mov_b32 s0, 0xaaaaaaab
	v_mul_hi_u32 v2, v31, s0
	v_mul_lo_u16_e32 v1, 0x55, v1
	s_load_dwordx2 s[6:7], s[4:5], 0x0
	s_load_dwordx2 s[12:13], s[4:5], 0x38
	v_sub_u16_e32 v183, v0, v1
	v_lshrrev_b32_e32 v0, 1, v2
	v_lshl_add_u32 v0, v0, 1, v0
	v_sub_u32_e32 v0, v31, v0
	v_mul_u32_u24_e32 v30, 0x550, v0
	s_movk_i32 s0, 0x50
	v_cmp_gt_u16_e32 vcc, s0, v183
	v_lshlrev_b32_e32 v49, 2, v183
	v_lshlrev_b32_e32 v176, 2, v30
	s_and_saveexec_b64 s[14:15], vcc
	s_cbranch_execz .LBB0_3
; %bb.2:
	s_load_dwordx2 s[0:1], s[4:5], 0x18
	v_or_b32_e32 v21, 0x280, v183
	v_lshl_add_u32 v16, v183, 2, v176
	v_add_u32_e32 v17, v176, v49
	s_waitcnt lgkmcnt(0)
	s_load_dwordx4 s[8:11], s[0:1], 0x0
	s_waitcnt lgkmcnt(0)
	v_mad_u64_u32 v[0:1], s[0:1], s10, v31, 0
	v_mad_u64_u32 v[2:3], s[0:1], s8, v183, 0
	;; [unrolled: 1-line block ×4, first 2 shown]
	v_mov_b32_e32 v1, v4
	v_lshlrev_b64 v[0:1], 2, v[0:1]
	v_mov_b32_e32 v3, v5
	v_mov_b32_e32 v6, s3
	v_lshlrev_b64 v[2:3], 2, v[2:3]
	v_add_co_u32_e64 v7, s[0:1], s2, v0
	v_addc_co_u32_e64 v8, s[0:1], v6, v1, s[0:1]
	v_add_co_u32_e64 v0, s[0:1], v7, v2
	v_addc_co_u32_e64 v1, s[0:1], v8, v3, s[0:1]
	s_mul_i32 s0, s9, 0x140
	s_mul_hi_u32 s3, s8, 0x140
	s_add_i32 s3, s3, s0
	s_mul_i32 s2, s8, 0x140
	v_mov_b32_e32 v3, s3
	v_add_co_u32_e64 v2, s[0:1], s2, v0
	v_addc_co_u32_e64 v3, s[0:1], v1, v3, s[0:1]
	global_load_dword v4, v[0:1], off
	global_load_dword v5, v[2:3], off
	global_load_dword v6, v49, s[6:7]
	global_load_dword v9, v49, s[6:7] offset:320
	v_mov_b32_e32 v1, s3
	v_add_co_u32_e64 v0, s[0:1], s2, v2
	v_addc_co_u32_e64 v1, s[0:1], v3, v1, s[0:1]
	global_load_dword v10, v[0:1], off
	global_load_dword v11, v49, s[6:7] offset:640
	v_mov_b32_e32 v2, s3
	v_add_co_u32_e64 v0, s[0:1], s2, v0
	v_addc_co_u32_e64 v1, s[0:1], v1, v2, s[0:1]
	global_load_dword v12, v[0:1], off
	global_load_dword v13, v49, s[6:7] offset:960
	v_add_co_u32_e64 v0, s[0:1], s2, v0
	v_addc_co_u32_e64 v1, s[0:1], v1, v2, s[0:1]
	global_load_dword v14, v[0:1], off
	global_load_dword v15, v49, s[6:7] offset:1280
	v_mov_b32_e32 v2, s7
	v_add_co_u32_e64 v22, s[0:1], s6, v49
	v_addc_co_u32_e64 v23, s[0:1], 0, v2, s[0:1]
	v_mad_u64_u32 v[2:3], s[0:1], s8, v21, 0
	v_mov_b32_e32 v24, s3
	v_add_co_u32_e64 v0, s[0:1], s2, v0
	global_load_dword v18, v49, s[6:7] offset:1600
	global_load_dword v19, v49, s[6:7] offset:1920
	;; [unrolled: 1-line block ×3, first 2 shown]
	v_addc_co_u32_e64 v1, s[0:1], v1, v24, s[0:1]
	global_load_dword v24, v[0:1], off
	v_mov_b32_e32 v25, s3
	v_add_co_u32_e64 v0, s[0:1], s2, v0
	v_addc_co_u32_e64 v1, s[0:1], v1, v25, s[0:1]
	v_mov_b32_e32 v35, s3
	s_waitcnt vmcnt(13)
	v_lshrrev_b32_e32 v26, 16, v4
	s_waitcnt vmcnt(11)
	v_mul_f16_sdwa v27, v6, v4 dst_sel:DWORD dst_unused:UNUSED_PAD src0_sel:WORD_1 src1_sel:DWORD
	v_mul_f16_sdwa v28, v6, v26 dst_sel:DWORD dst_unused:UNUSED_PAD src0_sel:WORD_1 src1_sel:DWORD
	v_fma_f16 v26, v6, v26, -v27
	v_lshrrev_b32_e32 v27, 16, v5
	s_waitcnt vmcnt(10)
	v_mul_f16_sdwa v29, v9, v5 dst_sel:DWORD dst_unused:UNUSED_PAD src0_sel:WORD_1 src1_sel:DWORD
	v_fma_f16 v4, v6, v4, v28
	v_mul_f16_sdwa v6, v9, v27 dst_sel:DWORD dst_unused:UNUSED_PAD src0_sel:WORD_1 src1_sel:DWORD
	s_waitcnt vmcnt(9)
	v_lshrrev_b32_e32 v28, 16, v10
	v_fma_f16 v27, v9, v27, -v29
	s_waitcnt vmcnt(8)
	v_mul_f16_sdwa v29, v11, v10 dst_sel:DWORD dst_unused:UNUSED_PAD src0_sel:WORD_1 src1_sel:DWORD
	v_pack_b32_f16 v4, v4, v26
	v_fma_f16 v5, v9, v5, v6
	v_mul_f16_sdwa v6, v11, v28 dst_sel:DWORD dst_unused:UNUSED_PAD src0_sel:WORD_1 src1_sel:DWORD
	v_fma_f16 v9, v11, v28, -v29
	ds_write_b32 v16, v4
	v_pack_b32_f16 v4, v5, v27
	v_fma_f16 v5, v11, v10, v6
	s_waitcnt vmcnt(5)
	v_lshrrev_b32_e32 v11, 16, v14
	s_waitcnt vmcnt(4)
	v_mul_f16_sdwa v16, v15, v14 dst_sel:DWORD dst_unused:UNUSED_PAD src0_sel:WORD_1 src1_sel:DWORD
	v_pack_b32_f16 v5, v5, v9
	v_mul_f16_sdwa v9, v15, v11 dst_sel:DWORD dst_unused:UNUSED_PAD src0_sel:WORD_1 src1_sel:DWORD
	v_fma_f16 v11, v15, v11, -v16
	ds_write2_b32 v17, v4, v5 offset0:80 offset1:160
	v_fma_f16 v4, v15, v14, v9
	v_pack_b32_f16 v9, v4, v11
	v_mad_u64_u32 v[3:4], s[0:1], s9, v21, v[3:4]
	global_load_dword v11, v[0:1], off
	v_lshrrev_b32_e32 v26, 16, v12
	v_mov_b32_e32 v5, s3
	v_add_co_u32_e64 v0, s[0:1], s2, v0
	v_mul_f16_sdwa v6, v13, v26 dst_sel:DWORD dst_unused:UNUSED_PAD src0_sel:WORD_1 src1_sel:DWORD
	v_addc_co_u32_e64 v1, s[0:1], v1, v5, s[0:1]
	v_lshlrev_b64 v[2:3], 2, v[2:3]
	v_mov_b32_e32 v4, 0x280
	v_mul_f16_sdwa v28, v13, v12 dst_sel:DWORD dst_unused:UNUSED_PAD src0_sel:WORD_1 src1_sel:DWORD
	v_fma_f16 v6, v13, v12, v6
	global_load_dword v12, v[0:1], off
	v_mad_u64_u32 v[0:1], s[0:1], s8, v4, v[0:1]
	v_add_co_u32_e64 v2, s[0:1], v7, v2
	v_addc_co_u32_e64 v3, s[0:1], v8, v3, s[0:1]
	v_fma_f16 v10, v13, v26, -v28
	global_load_dword v13, v[2:3], off
	s_mul_i32 s0, s9, 0x280
	v_add_u32_e32 v1, s0, v1
	global_load_dword v14, v[0:1], off
	global_load_dword v15, v49, s[6:7] offset:2560
	global_load_dword v16, v49, s[6:7] offset:2880
	v_mov_b32_e32 v2, s3
	v_add_co_u32_e64 v0, s[0:1], s2, v0
	v_addc_co_u32_e64 v1, s[0:1], v1, v2, s[0:1]
	global_load_dword v21, v[0:1], off
	v_add_co_u32_e64 v0, s[0:1], s2, v0
	v_addc_co_u32_e64 v1, s[0:1], v1, v2, s[0:1]
	global_load_dword v25, v[0:1], off
	;; [unrolled: 3-line block ×3, first 2 shown]
	global_load_dword v27, v49, s[6:7] offset:3200
	global_load_dword v28, v49, s[6:7] offset:3520
	;; [unrolled: 1-line block ×3, first 2 shown]
	v_add_co_u32_e64 v0, s[0:1], s2, v0
	v_addc_co_u32_e64 v1, s[0:1], v1, v2, s[0:1]
	s_movk_i32 s0, 0x1000
	v_add_co_u32_e64 v2, s[0:1], s0, v22
	v_addc_co_u32_e64 v3, s[0:1], 0, v23, s[0:1]
	global_load_dword v32, v[0:1], off
	v_mov_b32_e32 v4, s3
	v_add_co_u32_e64 v0, s[0:1], s2, v0
	v_or_b32_e32 v23, 0x500, v183
	v_addc_co_u32_e64 v1, s[0:1], v1, v4, s[0:1]
	v_mad_u64_u32 v[4:5], s[0:1], s8, v23, 0
	v_pack_b32_f16 v10, v6, v10
	global_load_dword v22, v[0:1], off
	global_load_dword v33, v[2:3], off offset:64
	global_load_dword v34, v[2:3], off offset:384
	v_mad_u64_u32 v[5:6], s[0:1], s9, v23, v[5:6]
	v_add_co_u32_e64 v0, s[0:1], s2, v0
	v_addc_co_u32_e64 v1, s[0:1], v1, v35, s[0:1]
	global_load_dword v6, v[0:1], off
	global_load_dword v35, v[2:3], off offset:704
	v_lshlrev_b64 v[0:1], 2, v[4:5]
	v_add_u32_e32 v2, 0x200, v17
	v_add_co_u32_e64 v0, s[0:1], v7, v0
	v_addc_co_u32_e64 v1, s[0:1], v8, v1, s[0:1]
	global_load_dword v0, v[0:1], off
	v_lshlrev_b32_e32 v1, 2, v23
	global_load_dword v1, v1, s[6:7]
	ds_write2_b32 v2, v10, v9 offset0:112 offset1:192
	s_waitcnt vmcnt(20)
	v_lshrrev_b32_e32 v2, 16, v24
	v_mul_f16_sdwa v3, v18, v2 dst_sel:DWORD dst_unused:UNUSED_PAD src0_sel:WORD_1 src1_sel:DWORD
	v_mul_f16_sdwa v4, v18, v24 dst_sel:DWORD dst_unused:UNUSED_PAD src0_sel:WORD_1 src1_sel:DWORD
	v_fma_f16 v3, v18, v24, v3
	v_fma_f16 v2, v18, v2, -v4
	v_pack_b32_f16 v2, v3, v2
	s_waitcnt vmcnt(19)
	v_lshrrev_b32_e32 v3, 16, v11
	v_mul_f16_sdwa v4, v19, v3 dst_sel:DWORD dst_unused:UNUSED_PAD src0_sel:WORD_1 src1_sel:DWORD
	v_mul_f16_sdwa v5, v19, v11 dst_sel:DWORD dst_unused:UNUSED_PAD src0_sel:WORD_1 src1_sel:DWORD
	v_fma_f16 v4, v19, v11, v4
	v_fma_f16 v3, v19, v3, -v5
	v_pack_b32_f16 v3, v4, v3
	v_add_u32_e32 v4, 0x400, v17
	ds_write2_b32 v4, v2, v3 offset0:144 offset1:224
	s_waitcnt vmcnt(18)
	v_lshrrev_b32_e32 v2, 16, v12
	v_mul_f16_sdwa v3, v20, v2 dst_sel:DWORD dst_unused:UNUSED_PAD src0_sel:WORD_1 src1_sel:DWORD
	v_mul_f16_sdwa v4, v20, v12 dst_sel:DWORD dst_unused:UNUSED_PAD src0_sel:WORD_1 src1_sel:DWORD
	v_fma_f16 v3, v20, v12, v3
	v_fma_f16 v2, v20, v2, -v4
	v_pack_b32_f16 v2, v3, v2
	s_waitcnt vmcnt(17)
	v_lshrrev_b32_e32 v3, 16, v13
	s_waitcnt vmcnt(15)
	v_mul_f16_sdwa v4, v15, v3 dst_sel:DWORD dst_unused:UNUSED_PAD src0_sel:WORD_1 src1_sel:DWORD
	v_mul_f16_sdwa v5, v15, v13 dst_sel:DWORD dst_unused:UNUSED_PAD src0_sel:WORD_1 src1_sel:DWORD
	v_fma_f16 v4, v15, v13, v4
	v_fma_f16 v3, v15, v3, -v5
	v_pack_b32_f16 v3, v4, v3
	v_add_u32_e32 v4, 0x800, v17
	ds_write2_b32 v4, v2, v3 offset0:48 offset1:128
	v_lshrrev_b32_e32 v2, 16, v14
	s_waitcnt vmcnt(14)
	v_mul_f16_sdwa v3, v16, v2 dst_sel:DWORD dst_unused:UNUSED_PAD src0_sel:WORD_1 src1_sel:DWORD
	v_mul_f16_sdwa v4, v16, v14 dst_sel:DWORD dst_unused:UNUSED_PAD src0_sel:WORD_1 src1_sel:DWORD
	v_fma_f16 v3, v16, v14, v3
	v_fma_f16 v2, v16, v2, -v4
	v_pack_b32_f16 v2, v3, v2
	s_waitcnt vmcnt(13)
	v_lshrrev_b32_e32 v3, 16, v21
	s_waitcnt vmcnt(10)
	v_mul_f16_sdwa v4, v27, v3 dst_sel:DWORD dst_unused:UNUSED_PAD src0_sel:WORD_1 src1_sel:DWORD
	v_mul_f16_sdwa v5, v27, v21 dst_sel:DWORD dst_unused:UNUSED_PAD src0_sel:WORD_1 src1_sel:DWORD
	v_fma_f16 v4, v27, v21, v4
	v_fma_f16 v3, v27, v3, -v5
	v_pack_b32_f16 v3, v4, v3
	v_add_u32_e32 v4, 0xa00, v17
	ds_write2_b32 v4, v2, v3 offset0:80 offset1:160
	v_lshrrev_b32_e32 v2, 16, v25
	s_waitcnt vmcnt(9)
	v_mul_f16_sdwa v3, v28, v2 dst_sel:DWORD dst_unused:UNUSED_PAD src0_sel:WORD_1 src1_sel:DWORD
	v_mul_f16_sdwa v4, v28, v25 dst_sel:DWORD dst_unused:UNUSED_PAD src0_sel:WORD_1 src1_sel:DWORD
	v_fma_f16 v3, v28, v25, v3
	v_fma_f16 v2, v28, v2, -v4
	v_pack_b32_f16 v2, v3, v2
	v_lshrrev_b32_e32 v3, 16, v26
	s_waitcnt vmcnt(8)
	v_mul_f16_sdwa v4, v29, v3 dst_sel:DWORD dst_unused:UNUSED_PAD src0_sel:WORD_1 src1_sel:DWORD
	v_mul_f16_sdwa v5, v29, v26 dst_sel:DWORD dst_unused:UNUSED_PAD src0_sel:WORD_1 src1_sel:DWORD
	v_fma_f16 v4, v29, v26, v4
	v_fma_f16 v3, v29, v3, -v5
	v_pack_b32_f16 v3, v4, v3
	v_add_u32_e32 v4, 0xc00, v17
	ds_write2_b32 v4, v2, v3 offset0:112 offset1:192
	s_waitcnt vmcnt(7)
	v_lshrrev_b32_e32 v2, 16, v32
	s_waitcnt vmcnt(5)
	v_mul_f16_sdwa v3, v33, v2 dst_sel:DWORD dst_unused:UNUSED_PAD src0_sel:WORD_1 src1_sel:DWORD
	v_mul_f16_sdwa v4, v33, v32 dst_sel:DWORD dst_unused:UNUSED_PAD src0_sel:WORD_1 src1_sel:DWORD
	v_fma_f16 v3, v33, v32, v3
	v_fma_f16 v2, v33, v2, -v4
	v_pack_b32_f16 v2, v3, v2
	v_lshrrev_b32_e32 v3, 16, v22
	s_waitcnt vmcnt(4)
	v_mul_f16_sdwa v4, v34, v3 dst_sel:DWORD dst_unused:UNUSED_PAD src0_sel:WORD_1 src1_sel:DWORD
	v_mul_f16_sdwa v5, v34, v22 dst_sel:DWORD dst_unused:UNUSED_PAD src0_sel:WORD_1 src1_sel:DWORD
	v_fma_f16 v4, v34, v22, v4
	v_fma_f16 v3, v34, v3, -v5
	v_pack_b32_f16 v3, v4, v3
	v_add_u32_e32 v4, 0x1000, v17
	ds_write2_b32 v4, v2, v3 offset0:16 offset1:96
	s_waitcnt vmcnt(3)
	v_lshrrev_b32_e32 v2, 16, v6
	s_waitcnt vmcnt(2)
	v_mul_f16_sdwa v3, v35, v2 dst_sel:DWORD dst_unused:UNUSED_PAD src0_sel:WORD_1 src1_sel:DWORD
	v_mul_f16_sdwa v4, v35, v6 dst_sel:DWORD dst_unused:UNUSED_PAD src0_sel:WORD_1 src1_sel:DWORD
	v_fma_f16 v3, v35, v6, v3
	v_fma_f16 v2, v35, v2, -v4
	v_pack_b32_f16 v2, v3, v2
	s_waitcnt vmcnt(1)
	v_lshrrev_b32_e32 v3, 16, v0
	s_waitcnt vmcnt(0)
	v_mul_f16_sdwa v4, v1, v3 dst_sel:DWORD dst_unused:UNUSED_PAD src0_sel:WORD_1 src1_sel:DWORD
	v_fma_f16 v4, v1, v0, v4
	v_mul_f16_sdwa v0, v1, v0 dst_sel:DWORD dst_unused:UNUSED_PAD src0_sel:WORD_1 src1_sel:DWORD
	v_fma_f16 v0, v1, v3, -v0
	v_pack_b32_f16 v0, v4, v0
	v_add_u32_e32 v1, 0x1200, v17
	ds_write2_b32 v1, v2, v0 offset0:48 offset1:128
.LBB0_3:
	s_or_b64 exec, exec, s[14:15]
	v_mov_b32_e32 v0, 0
	s_waitcnt lgkmcnt(0)
	s_barrier
	s_waitcnt lgkmcnt(0)
                                        ; implicit-def: $vgpr16
                                        ; implicit-def: $vgpr11
                                        ; implicit-def: $vgpr9
                                        ; implicit-def: $vgpr7
                                        ; implicit-def: $vgpr5
                                        ; implicit-def: $vgpr3
                                        ; implicit-def: $vgpr13
                                        ; implicit-def: $vgpr15
                                        ; implicit-def: $vgpr20
	s_and_saveexec_b64 s[0:1], vcc
	s_cbranch_execz .LBB0_5
; %bb.4:
	v_lshl_add_u32 v16, v30, 2, v49
	v_add_u32_e32 v2, 0x400, v16
	ds_read2_b32 v[0:1], v16 offset1:80
	ds_read2_b32 v[14:15], v16 offset0:160 offset1:240
	ds_read2_b32 v[12:13], v2 offset0:64 offset1:144
	v_add_u32_e32 v2, 0x600, v16
	v_add_u32_e32 v4, 0x800, v16
	;; [unrolled: 1-line block ×5, first 2 shown]
	ds_read2_b32 v[2:3], v2 offset0:96 offset1:176
	ds_read2_b32 v[4:5], v4 offset0:128 offset1:208
	;; [unrolled: 1-line block ×5, first 2 shown]
	ds_read_b32 v16, v16 offset:5120
	s_waitcnt lgkmcnt(7)
	v_alignbit_b32 v20, v14, v14, 16
.LBB0_5:
	s_or_b64 exec, exec, s[0:1]
	s_waitcnt lgkmcnt(0)
	v_pk_add_f16 v14, v1, v16 neg_lo:[0,1] neg_hi:[0,1]
	s_mov_b32 s24, 0xb5c8
	v_pk_add_f16 v18, v16, v1
	s_movk_i32 s10, 0x3b76
	v_mul_f16_sdwa v28, v14, s24 dst_sel:DWORD dst_unused:UNUSED_PAD src0_sel:WORD_1 src1_sel:DWORD
	v_fma_f16 v17, v18, s10, v28
	v_lshrrev_b32_e32 v44, 16, v18
	s_movk_i32 s11, 0x39e9
	v_mul_f16_e32 v45, 0xb964, v14
	v_add_f16_e32 v19, v17, v0
	v_fma_f16 v17, v44, s11, -v45
	s_mov_b32 s28, 0xb964
	v_add_f16_sdwa v22, v17, v0 dst_sel:DWORD dst_unused:UNUSED_PAD src0_sel:DWORD src1_sel:WORD_1
	v_pk_add_f16 v17, v11, v20 op_sel:[1,0] op_sel_hi:[0,1]
	v_pk_add_f16 v21, v20, v11 op_sel:[1,0] op_sel_hi:[0,1] neg_lo:[0,1] neg_hi:[0,1]
	v_lshrrev_b32_e32 v39, 16, v17
	v_mul_f16_sdwa v37, v21, s28 dst_sel:DWORD dst_unused:UNUSED_PAD src0_sel:WORD_1 src1_sel:DWORD
	v_fma_f16 v23, v39, s11, v37
	s_movk_i32 s14, 0x2de8
	v_mul_f16_e32 v47, 0xbbf7, v21
	v_add_f16_e32 v24, v23, v19
	v_fma_f16 v19, v17, s14, -v47
	v_add_f16_e32 v22, v19, v22
	v_pk_add_f16 v19, v15, v10 neg_lo:[0,1] neg_hi:[0,1]
	s_mov_b32 s26, 0xbb29
	v_pk_add_f16 v23, v10, v15
	s_movk_i32 s16, 0x3722
	v_mul_f16_sdwa v41, v19, s26 dst_sel:DWORD dst_unused:UNUSED_PAD src0_sel:WORD_1 src1_sel:DWORD
	v_fma_f16 v25, v23, s16, v41
	v_lshrrev_b32_e32 v53, 16, v23
	s_mov_b32 s17, 0xb8d2
	v_mul_f16_e32 v54, 0xba62, v19
	v_add_f16_e32 v24, v25, v24
	v_fma_f16 v25, v53, s17, -v54
	s_mov_b32 s25, 0xbbf7
	v_add_f16_e32 v26, v25, v22
	v_pk_add_f16 v22, v12, v9 neg_lo:[0,1] neg_hi:[0,1]
	v_pk_add_f16 v25, v9, v12
	v_mul_f16_sdwa v43, v22, s25 dst_sel:DWORD dst_unused:UNUSED_PAD src0_sel:WORD_1 src1_sel:DWORD
	v_fma_f16 v27, v25, s14, v43
	v_lshrrev_b32_e32 v56, 16, v25
	s_mov_b32 s21, 0xbbdd
	v_mul_f16_e32 v57, 0xb1e1, v22
	v_add_f16_e32 v29, v27, v24
	v_fma_f16 v24, v56, s21, -v57
	v_add_f16_e32 v26, v24, v26
	v_pk_add_f16 v24, v13, v8 neg_lo:[0,1] neg_hi:[0,1]
	s_mov_b32 s18, 0xbbb2
	v_pk_add_f16 v27, v8, v13
	s_mov_b32 s20, 0xb461
	v_mul_f16_sdwa v46, v24, s18 dst_sel:DWORD dst_unused:UNUSED_PAD src0_sel:WORD_1 src1_sel:DWORD
	v_fma_f16 v32, v27, s20, v46
	v_lshrrev_b32_e32 v59, 16, v27
	s_mov_b32 s22, 0xbacd
	v_mul_f16_e32 v60, 0x3836, v24
	v_add_f16_e32 v29, v32, v29
	v_fma_f16 v32, v59, s22, -v60
	s_mov_b32 s15, 0xba62
	v_add_f16_e32 v32, v32, v26
	v_pk_add_f16 v26, v2, v7 neg_lo:[0,1] neg_hi:[0,1]
	v_pk_add_f16 v36, v7, v2
	v_mul_f16_sdwa v50, v26, s15 dst_sel:DWORD dst_unused:UNUSED_PAD src0_sel:WORD_1 src1_sel:DWORD
	v_fma_f16 v33, v36, s17, v50
	v_lshrrev_b32_e32 v61, 16, v36
	v_mul_f16_e32 v62, 0x3bb2, v26
	v_add_f16_e32 v33, v33, v29
	v_fma_f16 v29, v61, s20, -v62
	v_add_f16_e32 v32, v29, v32
	v_pk_add_f16 v29, v3, v6 neg_lo:[0,1] neg_hi:[0,1]
	s_mov_b32 s23, 0xb836
	v_pk_add_f16 v40, v6, v3
	v_mul_f16_sdwa v55, v29, s23 dst_sel:DWORD dst_unused:UNUSED_PAD src0_sel:WORD_1 src1_sel:DWORD
	s_mov_b32 s19, 0xb1e1
	v_fma_f16 v34, v40, s22, v55
	v_lshrrev_b32_e32 v63, 16, v40
	v_mul_f16_e32 v64, 0x3b29, v29
	v_pk_add_f16 v38, v4, v5 neg_lo:[0,1] neg_hi:[0,1]
	v_add_f16_e32 v33, v34, v33
	v_fma_f16 v34, v63, s16, -v64
	v_pk_add_f16 v42, v5, v4
	v_mul_f16_sdwa v58, v38, s19 dst_sel:DWORD dst_unused:UNUSED_PAD src0_sel:WORD_1 src1_sel:DWORD
	v_add_f16_e32 v32, v34, v32
	v_fma_f16 v34, v42, s21, v58
	v_lshrrev_b32_e32 v65, 16, v42
	v_mul_f16_e32 v66, 0x35c8, v38
	v_add_f16_e32 v33, v34, v33
	v_fma_f16 v34, v65, s10, -v66
	s_mov_b32 s0, 0x3b7639e9
	v_add_f16_e32 v32, v34, v32
	s_mov_b32 s1, 0xb964b5c8
	v_pk_mul_f16 v34, v18, s0
	v_pk_fma_f16 v68, v14, s1, v34 op_sel:[0,0,1] op_sel_hi:[1,1,0] neg_lo:[1,0,0] neg_hi:[1,0,0]
	v_pk_fma_f16 v69, v14, s1, v34 op_sel:[0,0,1] op_sel_hi:[1,1,0]
	s_mov_b32 s1, 0xbbf7b964
	s_mov_b32 s0, 0x2de839e9
	v_pk_mul_f16 v34, v21, s1
	v_pk_fma_f16 v70, v17, s0, v34 neg_lo:[0,0,1] neg_hi:[0,0,1]
	v_pk_fma_f16 v71, v17, s0, v34
	s_mov_b32 s0, 0x3722b8d2
	s_mov_b32 s1, 0xba62bb29
	v_pk_mul_f16 v34, v23, s0
	s_mov_b32 s0, 0x2de8bbdd
	v_pk_fma_f16 v72, v19, s1, v34 op_sel:[0,0,1] op_sel_hi:[1,1,0] neg_lo:[1,0,0] neg_hi:[1,0,0]
	v_pk_fma_f16 v73, v19, s1, v34 op_sel:[0,0,1] op_sel_hi:[1,1,0]
	s_mov_b32 s1, 0xb1e1bbf7
	v_pk_mul_f16 v34, v25, s0
	s_mov_b32 s0, 0xb461bacd
	v_pk_fma_f16 v74, v22, s1, v34 op_sel:[0,0,1] op_sel_hi:[1,1,0] neg_lo:[1,0,0] neg_hi:[1,0,0]
	v_pk_fma_f16 v75, v22, s1, v34 op_sel:[0,0,1] op_sel_hi:[1,1,0]
	;; [unrolled: 5-line block ×4, first 2 shown]
	s_mov_b32 s1, 0x3b29b836
	v_pk_mul_f16 v34, v40, s0
	v_pk_fma_f16 v80, v29, s1, v34 op_sel:[0,0,1] op_sel_hi:[1,1,0] neg_lo:[1,0,0] neg_hi:[1,0,0]
	v_pk_fma_f16 v81, v29, s1, v34 op_sel:[0,0,1] op_sel_hi:[1,1,0]
	v_add_f16_sdwa v34, v68, v0 dst_sel:DWORD dst_unused:UNUSED_PAD src0_sel:DWORD src1_sel:WORD_1
	v_add_f16_e32 v34, v70, v34
	v_add_f16_e32 v34, v72, v34
	v_add_f16_e32 v34, v74, v34
	s_mov_b32 s0, 0xbbdd3b76
	v_add_f16_e32 v34, v76, v34
	s_mov_b32 s1, 0x35c8b1e1
	v_add_f16_e32 v34, v78, v34
	v_pk_mul_f16 v52, v42, s0
	v_add_f16_e32 v34, v80, v34
	v_pk_fma_f16 v82, v38, s1, v52 op_sel:[0,0,1] op_sel_hi:[1,1,0] neg_lo:[1,0,0] neg_hi:[1,0,0]
	v_add_f16_e32 v35, v82, v34
	v_add_f16_sdwa v34, v69, v0 dst_sel:DWORD dst_unused:UNUSED_PAD src0_sel:WORD_1 src1_sel:DWORD
	v_add_f16_sdwa v34, v71, v34 dst_sel:DWORD dst_unused:UNUSED_PAD src0_sel:WORD_1 src1_sel:DWORD
	;; [unrolled: 1-line block ×3, first 2 shown]
	s_load_dwordx2 s[8:9], s[4:5], 0x20
	s_load_dwordx2 s[2:3], s[4:5], 0x8
	v_add_f16_sdwa v34, v75, v34 dst_sel:DWORD dst_unused:UNUSED_PAD src0_sel:WORD_1 src1_sel:DWORD
	v_add_f16_sdwa v34, v77, v34 dst_sel:DWORD dst_unused:UNUSED_PAD src0_sel:WORD_1 src1_sel:DWORD
	;; [unrolled: 1-line block ×3, first 2 shown]
	v_pk_fma_f16 v83, v38, s1, v52 op_sel:[0,0,1] op_sel_hi:[1,1,0]
	v_add_f16_sdwa v34, v81, v34 dst_sel:DWORD dst_unused:UNUSED_PAD src0_sel:WORD_1 src1_sel:DWORD
	s_movk_i32 s31, 0x3836
	s_movk_i32 s30, 0x3bb2
	s_movk_i32 s4, 0x3b29
	s_movk_i32 s5, 0x35c8
	v_add_f16_sdwa v34, v83, v34 dst_sel:DWORD dst_unused:UNUSED_PAD src0_sel:WORD_1 src1_sel:DWORD
	v_mul_lo_u16_e32 v48, 17, v183
	s_waitcnt lgkmcnt(0)
	s_barrier
	s_and_saveexec_b64 s[0:1], vcc
	s_cbranch_execz .LBB0_7
; %bb.6:
	v_mul_f16_e32 v84, 0x3722, v44
	v_fma_f16 v67, v14, s4, v84
	s_movk_i32 s33, 0x3a62
	v_mul_f16_e32 v85, 0xb8d2, v17
	v_add_f16_sdwa v67, v67, v0 dst_sel:DWORD dst_unused:UNUSED_PAD src0_sel:DWORD src1_sel:WORD_1
	v_fma_f16 v86, v21, s33, v85
	v_add_f16_e32 v67, v86, v67
	v_mul_f16_e32 v86, 0xbbdd, v53
	v_fma_f16 v87, v19, s19, v86
	v_add_f16_e32 v67, v87, v67
	v_mul_f16_e32 v87, 0xb461, v56
	;; [unrolled: 3-line block ×4, first 2 shown]
	v_fma_f16 v90, v26, s5, v89
	v_add_f16_e32 v67, v90, v67
	s_movk_i32 s27, 0x3bf7
	v_mul_f16_e32 v90, 0x2de8, v63
	v_fma_f16 v91, v29, s27, v90
	v_add_f16_e32 v67, v91, v67
	v_mul_f16_e32 v91, 0xbacd, v65
	v_fma_f16 v92, v38, s31, v91
	v_add_f16_e32 v67, v92, v67
	v_mul_f16_sdwa v92, v14, s26 dst_sel:DWORD dst_unused:UNUSED_PAD src0_sel:WORD_1 src1_sel:DWORD
	v_fma_f16 v93, v18, s16, v92
	v_mul_f16_sdwa v94, v21, s15 dst_sel:DWORD dst_unused:UNUSED_PAD src0_sel:WORD_1 src1_sel:DWORD
	v_add_f16_e32 v93, v93, v0
	v_fma_f16 v95, v39, s17, v94
	s_movk_i32 s34, 0x31e1
	v_add_f16_e32 v93, v95, v93
	v_mul_f16_sdwa v95, v19, s34 dst_sel:DWORD dst_unused:UNUSED_PAD src0_sel:WORD_1 src1_sel:DWORD
	v_fma_f16 v96, v23, s21, v95
	v_add_f16_e32 v93, v96, v93
	v_mul_f16_sdwa v96, v22, s30 dst_sel:DWORD dst_unused:UNUSED_PAD src0_sel:WORD_1 src1_sel:DWORD
	v_fma_f16 v97, v25, s20, v96
	s_movk_i32 s29, 0x3964
	v_add_f16_e32 v93, v97, v93
	v_mul_f16_sdwa v97, v24, s29 dst_sel:DWORD dst_unused:UNUSED_PAD src0_sel:WORD_1 src1_sel:DWORD
	v_fma_f16 v98, v27, s11, v97
	v_add_f16_e32 v93, v98, v93
	v_mul_f16_sdwa v98, v26, s24 dst_sel:DWORD dst_unused:UNUSED_PAD src0_sel:WORD_1 src1_sel:DWORD
	v_fma_f16 v99, v36, s10, v98
	v_add_f16_e32 v93, v99, v93
	v_mul_f16_sdwa v99, v29, s25 dst_sel:DWORD dst_unused:UNUSED_PAD src0_sel:WORD_1 src1_sel:DWORD
	v_fma_f16 v100, v40, s14, v99
	v_add_f16_e32 v93, v100, v93
	v_mul_f16_sdwa v100, v38, s23 dst_sel:DWORD dst_unused:UNUSED_PAD src0_sel:WORD_1 src1_sel:DWORD
	v_fma_f16 v101, v42, s22, v100
	v_add_f16_e32 v93, v101, v93
	v_mul_f16_e32 v101, 0x2de8, v44
	v_fma_f16 v102, v14, s27, v101
	v_mul_f16_e32 v103, 0xbbdd, v17
	v_add_f16_sdwa v102, v102, v0 dst_sel:DWORD dst_unused:UNUSED_PAD src0_sel:DWORD src1_sel:WORD_1
	v_fma_f16 v104, v21, s34, v103
	v_add_f16_e32 v102, v104, v102
	v_mul_f16_e32 v104, 0xb461, v53
	v_fma_f16 v105, v19, s18, v104
	v_add_f16_e32 v102, v105, v102
	v_mul_f16_e32 v105, 0x3b76, v56
	v_fma_f16 v106, v22, s24, v105
	v_add_f16_e32 v102, v106, v102
	v_mul_f16_e32 v106, 0x3722, v59
	v_fma_f16 v107, v24, s4, v106
	v_add_f16_e32 v102, v107, v102
	v_mul_f16_e32 v107, 0xbacd, v61
	v_fma_f16 v108, v26, s31, v107
	v_add_f16_e32 v102, v108, v102
	v_mul_f16_e32 v108, 0xb8d2, v63
	v_fma_f16 v109, v29, s15, v108
	v_add_f16_e32 v102, v109, v102
	v_mul_f16_e32 v109, 0x39e9, v65
	v_fma_f16 v110, v38, s28, v109
	v_add_f16_e32 v102, v110, v102
	v_mul_f16_sdwa v110, v14, s25 dst_sel:DWORD dst_unused:UNUSED_PAD src0_sel:WORD_1 src1_sel:DWORD
	v_fma_f16 v111, v18, s14, v110
	v_mul_f16_sdwa v112, v21, s19 dst_sel:DWORD dst_unused:UNUSED_PAD src0_sel:WORD_1 src1_sel:DWORD
	v_add_f16_e32 v111, v111, v0
	v_fma_f16 v113, v39, s21, v112
	v_add_f16_e32 v111, v113, v111
	v_mul_f16_sdwa v113, v19, s30 dst_sel:DWORD dst_unused:UNUSED_PAD src0_sel:WORD_1 src1_sel:DWORD
	v_fma_f16 v114, v23, s20, v113
	v_add_f16_e32 v111, v114, v111
	v_mul_f16_sdwa v114, v22, s5 dst_sel:DWORD dst_unused:UNUSED_PAD src0_sel:WORD_1 src1_sel:DWORD
	v_fma_f16 v115, v25, s10, v114
	v_add_f16_e32 v111, v115, v111
	v_mul_f16_sdwa v115, v24, s26 dst_sel:DWORD dst_unused:UNUSED_PAD src0_sel:WORD_1 src1_sel:DWORD
	v_fma_f16 v116, v27, s16, v115
	v_add_f16_e32 v111, v116, v111
	v_mul_f16_sdwa v116, v26, s23 dst_sel:DWORD dst_unused:UNUSED_PAD src0_sel:WORD_1 src1_sel:DWORD
	v_fma_f16 v117, v36, s22, v116
	v_add_f16_e32 v111, v117, v111
	v_mul_f16_sdwa v117, v29, s33 dst_sel:DWORD dst_unused:UNUSED_PAD src0_sel:WORD_1 src1_sel:DWORD
	v_fma_f16 v118, v40, s17, v117
	v_add_f16_e32 v111, v118, v111
	v_mul_f16_sdwa v118, v38, s29 dst_sel:DWORD dst_unused:UNUSED_PAD src0_sel:WORD_1 src1_sel:DWORD
	v_fma_f16 v119, v42, s11, v118
	v_add_f16_e32 v111, v119, v111
	v_mul_f16_e32 v119, 0xb461, v44
	v_fma_f16 v120, v14, s30, v119
	v_mul_f16_e32 v121, 0xbacd, v17
	v_add_f16_sdwa v120, v120, v0 dst_sel:DWORD dst_unused:UNUSED_PAD src0_sel:DWORD src1_sel:WORD_1
	v_fma_f16 v122, v21, s23, v121
	v_add_f16_e32 v120, v122, v120
	v_mul_f16_e32 v122, 0x39e9, v53
	v_fma_f16 v123, v19, s28, v122
	v_add_f16_e32 v120, v123, v120
	v_mul_f16_e32 v123, 0x3722, v56
	v_fma_f16 v124, v22, s4, v123
	v_add_f16_e32 v120, v124, v120
	v_mul_f16_e32 v124, 0xbbdd, v59
	v_fma_f16 v125, v24, s34, v124
	v_add_f16_e32 v120, v125, v120
	v_mul_f16_e32 v125, 0x2de8, v61
	v_fma_f16 v126, v26, s25, v125
	v_add_f16_e32 v120, v126, v120
	v_mul_f16_e32 v126, 0x3b76, v63
	v_fma_f16 v127, v29, s5, v126
	v_add_f16_e32 v120, v127, v120
	v_mul_f16_e32 v127, 0xb8d2, v65
	v_fma_f16 v128, v38, s33, v127
	v_add_f16_e32 v120, v128, v120
	v_mul_f16_sdwa v128, v14, s18 dst_sel:DWORD dst_unused:UNUSED_PAD src0_sel:WORD_1 src1_sel:DWORD
	v_fma_f16 v129, v18, s20, v128
	v_mul_f16_sdwa v130, v21, s31 dst_sel:DWORD dst_unused:UNUSED_PAD src0_sel:WORD_1 src1_sel:DWORD
	v_add_f16_e32 v129, v129, v0
	v_fma_f16 v131, v39, s22, v130
	v_add_f16_e32 v129, v131, v129
	v_mul_f16_sdwa v131, v19, s29 dst_sel:DWORD dst_unused:UNUSED_PAD src0_sel:WORD_1 src1_sel:DWORD
	v_fma_f16 v132, v23, s11, v131
	v_add_f16_e32 v129, v132, v129
	v_mul_f16_sdwa v132, v22, s26 dst_sel:DWORD dst_unused:UNUSED_PAD src0_sel:WORD_1 src1_sel:DWORD
	v_fma_f16 v133, v25, s16, v132
	;; [unrolled: 48-line block ×3, first 2 shown]
	v_add_f16_e32 v147, v151, v147
	v_mul_f16_sdwa v151, v24, s27 dst_sel:DWORD dst_unused:UNUSED_PAD src0_sel:WORD_1 src1_sel:DWORD
	v_fma_f16 v152, v27, s14, v151
	v_add_f16_e32 v147, v152, v147
	v_mul_f16_sdwa v152, v26, s28 dst_sel:DWORD dst_unused:UNUSED_PAD src0_sel:WORD_1 src1_sel:DWORD
	v_fma_f16 v153, v36, s11, v152
	;; [unrolled: 3-line block ×4, first 2 shown]
	v_add_f16_e32 v147, v155, v147
	v_mul_f16_e32 v155, 0xbacd, v44
	v_fma_f16 v156, v14, s31, v155
	v_mul_f16_e32 v157, 0x3722, v17
	v_add_f16_sdwa v156, v156, v0 dst_sel:DWORD dst_unused:UNUSED_PAD src0_sel:DWORD src1_sel:WORD_1
	v_fma_f16 v158, v21, s26, v157
	v_add_f16_e32 v156, v158, v156
	v_mul_f16_e32 v158, 0x2de8, v53
	v_fma_f16 v159, v19, s27, v158
	v_add_f16_e32 v156, v159, v156
	v_mul_f16_e32 v159, 0xb8d2, v56
	;; [unrolled: 3-line block ×3, first 2 shown]
	v_fma_f16 v161, v24, s5, v160
	v_mul_f16_e32 v44, 0x39e9, v44
	v_add_f16_e32 v156, v161, v156
	v_mul_f16_e32 v161, 0xbbdd, v61
	v_add_f16_e32 v44, v45, v44
	v_mul_f16_e32 v45, 0x2de8, v17
	v_fma_f16 v162, v26, s34, v161
	v_add_f16_e32 v45, v47, v45
	v_add_f16_sdwa v44, v44, v0 dst_sel:DWORD dst_unused:UNUSED_PAD src0_sel:DWORD src1_sel:WORD_1
	v_add_f16_e32 v156, v162, v156
	v_mul_f16_e32 v162, 0x39e9, v63
	v_add_f16_e32 v44, v45, v44
	v_mul_f16_e32 v45, 0xb8d2, v53
	v_fma_f16 v163, v29, s28, v162
	v_add_f16_e32 v45, v54, v45
	v_add_f16_e32 v156, v163, v156
	v_mul_f16_e32 v163, 0xb461, v65
	v_add_f16_e32 v44, v45, v44
	v_mul_f16_e32 v45, 0xbbdd, v56
	v_fma_f16 v164, v38, s30, v163
	v_add_f16_e32 v45, v57, v45
	v_add_f16_e32 v156, v164, v156
	v_mul_f16_sdwa v164, v14, s23 dst_sel:DWORD dst_unused:UNUSED_PAD src0_sel:WORD_1 src1_sel:DWORD
	v_fma_f16 v155, v14, s23, v155
	v_fma_f16 v137, v14, s15, v137
	;; [unrolled: 1-line block ×5, first 2 shown]
	v_add_f16_e32 v44, v45, v44
	v_mul_f16_e32 v45, 0xbacd, v59
	v_fma_f16 v165, v18, s22, v164
	v_mul_f16_sdwa v166, v21, s4 dst_sel:DWORD dst_unused:UNUSED_PAD src0_sel:WORD_1 src1_sel:DWORD
	v_add_f16_sdwa v155, v155, v0 dst_sel:DWORD dst_unused:UNUSED_PAD src0_sel:DWORD src1_sel:WORD_1
	v_fma_f16 v157, v21, s4, v157
	v_add_f16_sdwa v137, v137, v0 dst_sel:DWORD dst_unused:UNUSED_PAD src0_sel:DWORD src1_sel:WORD_1
	v_fma_f16 v139, v21, s30, v139
	;; [unrolled: 2-line block ×5, first 2 shown]
	v_add_f16_e32 v45, v60, v45
	v_add_f16_e32 v165, v165, v0
	v_fma_f16 v167, v39, s16, v166
	v_add_f16_e32 v155, v157, v155
	v_fma_f16 v157, v19, s25, v158
	;; [unrolled: 2-line block ×6, first 2 shown]
	v_add_f16_e32 v44, v45, v44
	v_mul_f16_e32 v45, 0xb461, v61
	v_add_f16_e32 v165, v167, v165
	v_mul_f16_sdwa v167, v19, s25 dst_sel:DWORD dst_unused:UNUSED_PAD src0_sel:WORD_1 src1_sel:DWORD
	v_add_f16_e32 v155, v157, v155
	v_fma_f16 v157, v22, s33, v159
	v_add_f16_e32 v137, v139, v137
	v_fma_f16 v139, v22, s23, v141
	;; [unrolled: 2-line block ×5, first 2 shown]
	v_add_f16_e32 v45, v62, v45
	v_alignbit_b32 v60, v0, v0, 16
	v_fma_f16 v168, v23, s14, v167
	v_add_f16_e32 v155, v157, v155
	v_fma_f16 v157, v24, s24, v160
	v_add_f16_e32 v137, v139, v137
	v_fma_f16 v139, v24, s27, v142
	v_add_f16_e32 v119, v121, v119
	v_fma_f16 v121, v24, s19, v124
	v_add_f16_e32 v101, v103, v101
	v_fma_f16 v103, v24, s26, v106
	v_add_f16_e32 v84, v85, v84
	v_fma_f16 v85, v24, s29, v88
	v_add_f16_e32 v44, v45, v44
	v_mul_f16_e32 v45, 0x3722, v63
	v_alignbit_b32 v20, v20, v20, 16
	v_pk_add_f16 v1, v1, v60 op_sel:[0,1] op_sel_hi:[1,0]
	v_add_f16_e32 v165, v168, v165
	v_mul_f16_sdwa v168, v22, s33 dst_sel:DWORD dst_unused:UNUSED_PAD src0_sel:WORD_1 src1_sel:DWORD
	v_add_f16_e32 v155, v157, v155
	v_fma_f16 v157, v26, s19, v161
	v_add_f16_e32 v137, v139, v137
	v_fma_f16 v139, v26, s28, v143
	;; [unrolled: 2-line block ×5, first 2 shown]
	v_add_f16_e32 v45, v64, v45
	v_pk_add_f16 v1, v20, v1
	v_fma_f16 v169, v25, s17, v168
	v_add_f16_e32 v155, v157, v155
	v_fma_f16 v157, v29, s29, v162
	v_add_f16_e32 v137, v139, v137
	;; [unrolled: 2-line block ×6, first 2 shown]
	v_mul_f16_e32 v45, 0x3b76, v65
	v_pk_add_f16 v1, v15, v1
	v_add_f16_e32 v165, v169, v165
	v_mul_f16_sdwa v169, v24, s24 dst_sel:DWORD dst_unused:UNUSED_PAD src0_sel:WORD_1 src1_sel:DWORD
	v_add_f16_e32 v155, v157, v155
	v_fma_f16 v157, v38, s18, v163
	v_add_f16_e32 v137, v139, v137
	v_fma_f16 v139, v38, s4, v145
	;; [unrolled: 2-line block ×5, first 2 shown]
	v_add_f16_e32 v45, v66, v45
	s_mov_b32 s24, 0xffff
	v_mul_f16_e32 v62, 0x3b76, v18
	v_pk_add_f16 v1, v12, v1
	v_add_f16_e32 v155, v157, v155
	v_fma_f16 v157, v18, s22, -v164
	v_fma_f16 v158, v39, s16, -v166
	v_add_f16_e32 v137, v139, v137
	v_fma_f16 v139, v18, s17, -v146
	v_fma_f16 v140, v39, s20, -v148
	;; [unrolled: 3-line block ×5, first 2 shown]
	v_add_f16_e32 v44, v45, v44
	v_bfi_b32 v45, s24, v69, v68
	v_mul_f16_e32 v39, 0x39e9, v39
	v_sub_f16_e32 v28, v62, v28
	v_pk_add_f16 v1, v13, v1
	v_add_f16_e32 v157, v157, v0
	v_add_f16_e32 v139, v139, v0
	;; [unrolled: 1-line block ×5, first 2 shown]
	v_bfi_b32 v47, s24, v71, v70
	v_mul_f16_e32 v62, 0x3722, v23
	v_sub_f16_e32 v37, v39, v37
	v_add_f16_e32 v0, v28, v0
	v_pk_add_f16 v1, v2, v1
	v_pk_add_f16 v2, v45, v60
	v_bfi_b32 v53, s24, v73, v72
	v_mul_f16_e32 v39, 0x2de8, v25
	v_add_f16_e32 v0, v37, v0
	v_sub_f16_e32 v37, v62, v41
	v_pk_add_f16 v2, v47, v2
	v_add_f16_e32 v103, v104, v103
	v_fma_f16 v104, v23, s20, -v113
	v_add_f16_e32 v85, v86, v85
	v_fma_f16 v86, v23, s21, -v95
	v_bfi_b32 v54, s24, v75, v74
	v_mul_f16_e32 v28, 0xb461, v27
	v_add_f16_e32 v0, v37, v0
	v_sub_f16_e32 v39, v39, v43
	v_pk_add_f16 v1, v3, v1
	v_pk_add_f16 v2, v53, v2
	v_fma_f16 v170, v27, s10, v169
	v_add_f16_e32 v139, v140, v139
	v_fma_f16 v140, v23, s10, -v149
	v_add_f16_e32 v121, v122, v121
	v_fma_f16 v122, v23, s11, -v131
	;; [unrolled: 2-line block ×4, first 2 shown]
	v_bfi_b32 v56, s24, v77, v76
	v_mul_f16_e32 v41, 0xb8d2, v36
	v_add_f16_e32 v0, v39, v0
	v_sub_f16_e32 v28, v28, v46
	v_pk_add_f16 v1, v4, v1
	v_pk_add_f16 v2, v54, v2
	v_add_f16_e32 v165, v170, v165
	v_mul_f16_sdwa v170, v26, s19 dst_sel:DWORD dst_unused:UNUSED_PAD src0_sel:WORD_1 src1_sel:DWORD
	v_add_f16_e32 v157, v158, v157
	v_fma_f16 v158, v23, s14, -v167
	v_add_f16_e32 v139, v140, v139
	v_fma_f16 v140, v25, s22, -v150
	;; [unrolled: 2-line block ×5, first 2 shown]
	v_bfi_b32 v57, s24, v79, v78
	v_mul_f16_e32 v37, 0xbacd, v40
	v_add_f16_e32 v0, v28, v0
	v_sub_f16_e32 v28, v41, v50
	v_pk_add_f16 v1, v5, v1
	v_pk_add_f16 v2, v56, v2
	v_fma_f16 v171, v36, s21, v170
	v_add_f16_e32 v157, v158, v157
	v_fma_f16 v158, v25, s17, -v168
	v_add_f16_e32 v139, v140, v139
	v_fma_f16 v140, v27, s14, -v151
	;; [unrolled: 2-line block ×5, first 2 shown]
	v_bfi_b32 v59, s24, v81, v80
	v_mul_f16_e32 v43, 0xbbdd, v42
	v_add_f16_e32 v0, v28, v0
	v_sub_f16_e32 v28, v37, v55
	v_pk_add_f16 v1, v6, v1
	v_pk_add_f16 v2, v57, v2
	v_add_f16_e32 v165, v171, v165
	v_mul_f16_sdwa v171, v29, s29 dst_sel:DWORD dst_unused:UNUSED_PAD src0_sel:WORD_1 src1_sel:DWORD
	v_add_f16_e32 v157, v158, v157
	v_fma_f16 v158, v27, s10, -v169
	v_add_f16_e32 v139, v140, v139
	v_fma_f16 v140, v36, s11, -v152
	;; [unrolled: 2-line block ×5, first 2 shown]
	v_bfi_b32 v61, s24, v83, v82
	v_add_f16_e32 v0, v28, v0
	v_sub_f16_e32 v28, v43, v58
	v_pk_add_f16 v1, v7, v1
	v_pk_add_f16 v2, v59, v2
	v_fma_f16 v172, v40, s11, v171
	v_add_f16_e32 v157, v158, v157
	v_fma_f16 v158, v36, s21, -v170
	v_add_f16_e32 v139, v140, v139
	v_fma_f16 v140, v40, s21, -v153
	;; [unrolled: 2-line block ×5, first 2 shown]
	v_add_f16_e32 v0, v28, v0
	v_pk_add_f16 v1, v8, v1
	v_pk_add_f16 v2, v61, v2
	v_add_f16_e32 v165, v172, v165
	v_mul_f16_sdwa v172, v38, s18 dst_sel:DWORD dst_unused:UNUSED_PAD src0_sel:WORD_1 src1_sel:DWORD
	v_add_f16_e32 v157, v158, v157
	v_fma_f16 v158, v40, s11, -v171
	v_add_f16_e32 v139, v140, v139
	v_fma_f16 v140, v42, s16, -v154
	;; [unrolled: 2-line block ×3, first 2 shown]
	v_add_f16_e32 v103, v104, v103
	v_add_f16_e32 v85, v86, v85
	v_add_lshl_u32 v12, v30, v48, 2
	v_pk_add_f16 v1, v9, v1
	v_alignbit_b32 v3, v44, v2, 16
	v_pack_b32_f16 v0, v0, v2
	v_add_f16_e32 v157, v158, v157
	v_fma_f16 v158, v42, s20, -v172
	v_add_f16_e32 v139, v140, v139
	v_add_f16_e32 v121, v122, v121
	v_pk_add_f16 v1, v10, v1
	ds_write2_b32 v12, v0, v3 offset0:1 offset1:2
	v_pack_b32_f16 v0, v103, v101
	v_pack_b32_f16 v2, v85, v84
	v_add_f16_e32 v157, v158, v157
	v_pk_add_f16 v1, v11, v1
	ds_write2_b32 v12, v2, v0 offset0:3 offset1:4
	v_pack_b32_f16 v0, v139, v137
	v_pack_b32_f16 v2, v121, v119
	v_pk_add_f16 v1, v16, v1
	ds_write2_b32 v12, v2, v0 offset0:5 offset1:6
	v_pack_b32_f16 v0, v157, v155
	ds_write2_b32 v12, v1, v0 offset1:7
	v_pk_mul_f16 v0, v18, s21 op_sel_hi:[1,0]
	v_pk_fma_f16 v1, v14, s19, v0 op_sel:[0,0,1] op_sel_hi:[1,0,0] neg_lo:[1,0,0] neg_hi:[1,0,0]
	v_pk_mul_f16 v2, v21, s5 op_sel_hi:[1,0]
	v_pk_add_f16 v1, v1, v60
	v_pk_fma_f16 v3, v17, s10, v2 op_sel_hi:[1,0,1] neg_lo:[0,0,1] neg_hi:[0,0,1]
	v_pk_add_f16 v1, v3, v1
	v_pk_mul_f16 v3, v23, s22 op_sel_hi:[1,0]
	v_pk_fma_f16 v4, v19, s23, v3 op_sel:[0,0,1] op_sel_hi:[1,0,0] neg_lo:[1,0,0] neg_hi:[1,0,0]
	v_pk_add_f16 v1, v4, v1
	v_pk_mul_f16 v4, v25, s11 op_sel_hi:[1,0]
	v_pk_fma_f16 v5, v22, s29, v4 op_sel:[0,0,1] op_sel_hi:[1,0,0] neg_lo:[1,0,0] neg_hi:[1,0,0]
	v_pk_add_f16 v1, v5, v1
	v_pk_mul_f16 v5, v27, s17 op_sel_hi:[1,0]
	v_pk_fma_f16 v0, v14, s19, v0 op_sel:[0,0,1] op_sel_hi:[1,0,0]
	v_pk_fma_f16 v6, v24, s15, v5 op_sel:[0,0,1] op_sel_hi:[1,0,0] neg_lo:[1,0,0] neg_hi:[1,0,0]
	v_pk_add_f16 v0, v0, v60
	v_pk_fma_f16 v2, v17, s10, v2 op_sel_hi:[1,0,1]
	v_pk_add_f16 v1, v6, v1
	v_pk_mul_f16 v6, v36, s16 op_sel_hi:[1,0]
	v_pk_add_f16 v0, v2, v0
	v_pk_fma_f16 v2, v19, s23, v3 op_sel:[0,0,1] op_sel_hi:[1,0,0]
	v_pk_fma_f16 v7, v26, s4, v6 op_sel:[0,0,1] op_sel_hi:[1,0,0] neg_lo:[1,0,0] neg_hi:[1,0,0]
	v_pk_add_f16 v0, v2, v0
	v_pk_fma_f16 v2, v22, s29, v4 op_sel:[0,0,1] op_sel_hi:[1,0,0]
	v_pk_add_f16 v1, v7, v1
	v_pk_mul_f16 v7, v40, s20 op_sel_hi:[1,0]
	v_pk_add_f16 v0, v2, v0
	v_pk_fma_f16 v2, v24, s15, v5 op_sel:[0,0,1] op_sel_hi:[1,0,0]
	v_pk_fma_f16 v8, v29, s18, v7 op_sel:[0,0,1] op_sel_hi:[1,0,0] neg_lo:[1,0,0] neg_hi:[1,0,0]
	v_pk_add_f16 v0, v2, v0
	v_pk_fma_f16 v2, v26, s4, v6 op_sel:[0,0,1] op_sel_hi:[1,0,0]
	;; [unrolled: 7-line block ×3, first 2 shown]
	v_fma_f16 v173, v42, s20, v172
	v_pk_add_f16 v1, v9, v1
	v_pk_add_f16 v0, v2, v0
	v_add_f16_e32 v165, v173, v165
	v_alignbit_b32 v2, v1, v0, 16
	v_alignbit_b32 v0, v0, v1, 16
	ds_write2_b32 v12, v0, v2 offset0:8 offset1:9
	v_pack_b32_f16 v0, v147, v138
	v_pack_b32_f16 v1, v165, v156
	ds_write2_b32 v12, v1, v0 offset0:10 offset1:11
	v_pack_b32_f16 v0, v111, v102
	v_pack_b32_f16 v1, v129, v120
	s_mov_b32 s4, 0x5040100
	ds_write2_b32 v12, v1, v0 offset0:12 offset1:13
	v_pack_b32_f16 v0, v93, v67
	v_perm_b32 v1, v32, v34, s4
	ds_write2_b32 v12, v0, v1 offset0:14 offset1:15
	v_perm_b32 v0, v35, v33, s4
	ds_write_b32 v12, v0 offset:64
.LBB0_7:
	s_or_b64 exec, exec, s[0:1]
	v_add_lshl_u32 v53, v30, v183, 2
	v_add_u32_e32 v0, 0x200, v53
	s_waitcnt lgkmcnt(0)
	s_barrier
	ds_read2_b32 v[16:17], v0 offset0:42 offset1:144
	v_add_u32_e32 v0, 0x800, v53
	ds_read2_b32 v[22:23], v0 offset0:32 offset1:117
	v_add_u32_e32 v0, 0xa00, v53
	;; [unrolled: 2-line block ×5, first 2 shown]
	ds_read2_b32 v[18:19], v53 offset1:85
	ds_read2_b32 v[26:27], v0 offset0:133 offset1:218
	ds_read_b32 v36, v53 offset:5032
	v_cmp_gt_u16_e64 s[0:1], 17, v183
                                        ; implicit-def: $vgpr37
                                        ; implicit-def: $vgpr42
                                        ; implicit-def: $vgpr38
                                        ; implicit-def: $vgpr40
                                        ; implicit-def: $vgpr39
                                        ; implicit-def: $vgpr41
	s_and_saveexec_b64 s[4:5], s[0:1]
	s_cbranch_execz .LBB0_9
; %bb.8:
	ds_read_b32 v34, v53 offset:1020
	ds_read_b32 v33, v53 offset:2108
	;; [unrolled: 1-line block ×5, first 2 shown]
	s_waitcnt lgkmcnt(4)
	v_lshrrev_b32_e32 v32, 16, v34
	s_waitcnt lgkmcnt(3)
	v_lshrrev_b32_e32 v35, 16, v33
	;; [unrolled: 2-line block ×5, first 2 shown]
.LBB0_9:
	s_or_b64 exec, exec, s[4:5]
	s_movk_i32 s4, 0xf1
	v_mul_lo_u16_sdwa v0, v183, s4 dst_sel:DWORD dst_unused:UNUSED_PAD src0_sel:BYTE_0 src1_sel:DWORD
	v_lshrrev_b16_e32 v43, 12, v0
	v_mul_lo_u16_e32 v0, 17, v43
	v_sub_u16_e32 v44, v183, v0
	v_mov_b32_e32 v0, 4
	v_lshlrev_b32_sdwa v1, v0, v44 dst_sel:DWORD dst_unused:UNUSED_PAD src0_sel:DWORD src1_sel:BYTE_0
	global_load_dwordx4 v[4:7], v1, s[2:3]
	v_add_u16_e32 v1, 0x55, v183
	v_mul_lo_u16_sdwa v2, v1, s4 dst_sel:DWORD dst_unused:UNUSED_PAD src0_sel:BYTE_0 src1_sel:DWORD
	v_lshrrev_b16_e32 v45, 12, v2
	v_mul_lo_u16_e32 v2, 17, v45
	v_sub_u16_e32 v46, v1, v2
	v_lshlrev_b32_sdwa v1, v0, v46 dst_sel:DWORD dst_unused:UNUSED_PAD src0_sel:DWORD src1_sel:BYTE_0
	global_load_dwordx4 v[8:11], v1, s[2:3]
	v_add_u16_e32 v1, 0xaa, v183
	v_mul_lo_u16_sdwa v2, v1, s4 dst_sel:DWORD dst_unused:UNUSED_PAD src0_sel:BYTE_0 src1_sel:DWORD
	v_lshrrev_b16_e32 v47, 12, v2
	v_mul_lo_u16_e32 v2, 17, v47
	v_sub_u16_e32 v50, v1, v2
	v_lshlrev_b32_sdwa v0, v0, v50 dst_sel:DWORD dst_unused:UNUSED_PAD src0_sel:DWORD src1_sel:BYTE_0
	global_load_dwordx4 v[12:15], v0, s[2:3]
	v_add_u32_e32 v0, 0xff, v183
	s_mov_b32 s4, 0xf0f1
	v_mul_u32_u24_sdwa v1, v0, s4 dst_sel:DWORD dst_unused:UNUSED_PAD src0_sel:WORD_0 src1_sel:DWORD
	v_lshrrev_b32_e32 v1, 20, v1
	v_mul_lo_u16_e32 v1, 17, v1
	v_sub_u16_e32 v137, v0, v1
	v_lshlrev_b16_e32 v0, 2, v137
	v_lshlrev_b32_e32 v0, 2, v0
	global_load_dwordx4 v[0:3], v0, s[2:3]
	s_waitcnt lgkmcnt(7)
	v_lshrrev_b32_e32 v56, 16, v17
	s_waitcnt lgkmcnt(3)
	v_lshrrev_b32_e32 v61, 16, v28
	;; [unrolled: 2-line block ×4, first 2 shown]
	v_lshrrev_b32_e32 v57, 16, v22
	v_lshrrev_b32_e32 v67, 16, v20
	;; [unrolled: 1-line block ×7, first 2 shown]
	s_movk_i32 s5, 0x3b9c
	s_mov_b32 s15, 0xbb9c
	s_movk_i32 s4, 0x38b4
	s_mov_b32 s16, 0xb8b4
	s_movk_i32 s14, 0x34f2
	v_lshrrev_b32_e32 v55, 16, v18
	v_lshrrev_b32_e32 v60, 16, v19
	;; [unrolled: 1-line block ×4, first 2 shown]
	s_load_dwordx4 s[8:11], s[8:9], 0x0
	s_waitcnt vmcnt(0) lgkmcnt(0)
	s_barrier
	v_mul_f16_sdwa v70, v56, v4 dst_sel:DWORD dst_unused:UNUSED_PAD src0_sel:DWORD src1_sel:WORD_1
	v_mul_f16_sdwa v71, v17, v4 dst_sel:DWORD dst_unused:UNUSED_PAD src0_sel:DWORD src1_sel:WORD_1
	v_fma_f16 v70, v17, v4, -v70
	v_mul_f16_sdwa v72, v57, v5 dst_sel:DWORD dst_unused:UNUSED_PAD src0_sel:DWORD src1_sel:WORD_1
	v_mul_f16_sdwa v77, v24, v7 dst_sel:DWORD dst_unused:UNUSED_PAD src0_sel:DWORD src1_sel:WORD_1
	;; [unrolled: 1-line block ×6, first 2 shown]
	v_fma_f16 v28, v28, v8, -v78
	v_fma_f16 v56, v56, v4, v71
	v_fma_f16 v71, v22, v5, -v72
	v_fma_f16 v59, v59, v7, v77
	v_mul_f16_sdwa v73, v22, v5 dst_sel:DWORD dst_unused:UNUSED_PAD src0_sel:DWORD src1_sel:WORD_1
	v_mul_f16_sdwa v90, v68, v14 dst_sel:DWORD dst_unused:UNUSED_PAD src0_sel:DWORD src1_sel:WORD_1
	;; [unrolled: 1-line block ×3, first 2 shown]
	v_fma_f16 v78, v27, v14, -v90
	v_fma_f16 v27, v68, v14, v17
	v_mul_f16_sdwa v17, v69, v15 dst_sel:DWORD dst_unused:UNUSED_PAD src0_sel:DWORD src1_sel:WORD_1
	v_fma_f16 v68, v36, v15, -v17
	v_mul_f16_sdwa v17, v36, v15 dst_sel:DWORD dst_unused:UNUSED_PAD src0_sel:DWORD src1_sel:WORD_1
	v_mul_f16_sdwa v88, v67, v13 dst_sel:DWORD dst_unused:UNUSED_PAD src0_sel:DWORD src1_sel:WORD_1
	v_fma_f16 v36, v69, v15, v17
	v_mul_f16_sdwa v17, v35, v0 dst_sel:DWORD dst_unused:UNUSED_PAD src0_sel:DWORD src1_sel:WORD_1
	v_mul_f16_sdwa v89, v20, v13 dst_sel:DWORD dst_unused:UNUSED_PAD src0_sel:DWORD src1_sel:WORD_1
	v_fma_f16 v77, v20, v13, -v88
	v_fma_f16 v17, v33, v0, -v17
	v_mul_f16_sdwa v20, v33, v0 dst_sel:DWORD dst_unused:UNUSED_PAD src0_sel:DWORD src1_sel:WORD_1
	v_add_f16_e32 v33, v18, v70
	v_fma_f16 v72, v21, v6, -v74
	v_add_f16_e32 v33, v33, v71
	v_fma_f16 v57, v57, v5, v73
	v_fma_f16 v73, v24, v7, -v76
	v_add_f16_e32 v33, v33, v72
	v_mul_f16_sdwa v75, v21, v6 dst_sel:DWORD dst_unused:UNUSED_PAD src0_sel:DWORD src1_sel:WORD_1
	v_mul_f16_sdwa v80, v62, v9 dst_sel:DWORD dst_unused:UNUSED_PAD src0_sel:DWORD src1_sel:WORD_1
	;; [unrolled: 1-line block ×4, first 2 shown]
	v_fma_f16 v21, v35, v0, v20
	v_mul_f16_sdwa v20, v42, v1 dst_sel:DWORD dst_unused:UNUSED_PAD src0_sel:DWORD src1_sel:WORD_1
	v_mul_f16_sdwa v22, v37, v1 dst_sel:DWORD dst_unused:UNUSED_PAD src0_sel:DWORD src1_sel:WORD_1
	;; [unrolled: 1-line block ×3, first 2 shown]
	v_add_f16_e32 v35, v33, v73
	v_add_f16_e32 v33, v71, v72
	v_mul_f16_sdwa v81, v23, v9 dst_sel:DWORD dst_unused:UNUSED_PAD src0_sel:DWORD src1_sel:WORD_1
	v_mul_f16_sdwa v83, v26, v10 dst_sel:DWORD dst_unused:UNUSED_PAD src0_sel:DWORD src1_sel:WORD_1
	;; [unrolled: 1-line block ×3, first 2 shown]
	v_fma_f16 v58, v58, v6, v75
	v_fma_f16 v74, v23, v9, -v80
	v_fma_f16 v75, v26, v10, -v82
	;; [unrolled: 1-line block ×4, first 2 shown]
	v_fma_f16 v23, v42, v1, v22
	v_mul_f16_sdwa v22, v40, v2 dst_sel:DWORD dst_unused:UNUSED_PAD src0_sel:DWORD src1_sel:WORD_1
	v_fma_f16 v25, v40, v2, v24
	v_mul_f16_sdwa v24, v41, v3 dst_sel:DWORD dst_unused:UNUSED_PAD src0_sel:DWORD src1_sel:WORD_1
	v_mul_f16_sdwa v26, v39, v3 dst_sel:DWORD dst_unused:UNUSED_PAD src0_sel:DWORD src1_sel:WORD_1
	v_fma_f16 v33, v33, -0.5, v18
	v_sub_f16_e32 v37, v56, v59
	v_fma_f16 v22, v38, v2, -v22
	v_fma_f16 v24, v39, v3, -v24
	v_fma_f16 v26, v41, v3, v26
	v_fma_f16 v38, v37, s5, v33
	v_sub_f16_e32 v39, v57, v58
	v_sub_f16_e32 v40, v70, v71
	;; [unrolled: 1-line block ×3, first 2 shown]
	v_fma_f16 v33, v37, s15, v33
	v_fma_f16 v38, v39, s4, v38
	v_add_f16_e32 v40, v40, v41
	v_fma_f16 v33, v39, s16, v33
	v_fma_f16 v38, v40, s14, v38
	;; [unrolled: 1-line block ×3, first 2 shown]
	v_add_f16_e32 v33, v70, v73
	v_fma_f16 v18, v33, -0.5, v18
	v_fma_f16 v33, v39, s15, v18
	v_sub_f16_e32 v41, v71, v70
	v_sub_f16_e32 v42, v72, v73
	v_fma_f16 v33, v37, s4, v33
	v_add_f16_e32 v41, v41, v42
	v_fma_f16 v42, v41, s14, v33
	v_add_f16_e32 v33, v55, v56
	v_add_f16_e32 v33, v33, v57
	v_fma_f16 v18, v39, s5, v18
	v_add_f16_e32 v33, v33, v58
	v_fma_f16 v18, v37, s16, v18
	v_add_f16_e32 v37, v33, v59
	v_add_f16_e32 v33, v57, v58
	v_fma_f16 v33, v33, -0.5, v55
	v_sub_f16_e32 v39, v70, v73
	v_fma_f16 v18, v41, s14, v18
	v_fma_f16 v41, v39, s15, v33
	v_sub_f16_e32 v69, v71, v72
	v_sub_f16_e32 v70, v56, v57
	;; [unrolled: 1-line block ×3, first 2 shown]
	v_fma_f16 v33, v39, s5, v33
	v_fma_f16 v41, v69, s16, v41
	v_add_f16_e32 v70, v70, v71
	v_fma_f16 v33, v69, s4, v33
	v_fma_f16 v41, v70, s14, v41
	v_fma_f16 v70, v70, s14, v33
	v_add_f16_e32 v33, v56, v59
	v_fma_f16 v33, v33, -0.5, v55
	v_fma_f16 v55, v69, s5, v33
	v_sub_f16_e32 v56, v57, v56
	v_sub_f16_e32 v57, v58, v59
	v_fma_f16 v33, v69, s15, v33
	v_add_f16_e32 v56, v56, v57
	v_fma_f16 v33, v39, s4, v33
	v_fma_f16 v55, v39, s16, v55
	;; [unrolled: 1-line block ×3, first 2 shown]
	v_add_f16_e32 v33, v19, v28
	v_add_f16_e32 v33, v33, v74
	;; [unrolled: 1-line block ×3, first 2 shown]
	v_fma_f16 v61, v61, v8, v79
	v_fma_f16 v64, v64, v11, v85
	v_add_f16_e32 v69, v33, v76
	v_add_f16_e32 v33, v74, v75
	v_fma_f16 v62, v62, v9, v81
	v_fma_f16 v63, v63, v10, v83
	;; [unrolled: 1-line block ×3, first 2 shown]
	v_fma_f16 v33, v33, -0.5, v19
	v_sub_f16_e32 v55, v61, v64
	v_fma_f16 v56, v55, s5, v33
	v_sub_f16_e32 v57, v62, v63
	v_sub_f16_e32 v58, v28, v74
	;; [unrolled: 1-line block ×3, first 2 shown]
	v_fma_f16 v33, v55, s15, v33
	v_add_f16_e32 v58, v58, v59
	v_fma_f16 v33, v57, s16, v33
	v_fma_f16 v73, v58, s14, v33
	v_add_f16_e32 v33, v28, v76
	v_fma_f16 v56, v57, s4, v56
	v_fma_f16 v19, v33, -0.5, v19
	v_fma_f16 v72, v58, s14, v56
	v_fma_f16 v33, v57, s15, v19
	v_sub_f16_e32 v56, v74, v28
	v_sub_f16_e32 v58, v75, v76
	v_fma_f16 v33, v55, s4, v33
	v_add_f16_e32 v56, v56, v58
	v_fma_f16 v79, v56, s14, v33
	v_add_f16_e32 v33, v60, v61
	v_add_f16_e32 v33, v33, v62
	;; [unrolled: 1-line block ×3, first 2 shown]
	v_fma_f16 v19, v57, s5, v19
	v_add_f16_e32 v80, v33, v64
	v_add_f16_e32 v33, v62, v63
	v_fma_f16 v19, v55, s16, v19
	v_fma_f16 v33, v33, -0.5, v60
	v_sub_f16_e32 v28, v28, v76
	v_fma_f16 v19, v56, s14, v19
	v_fma_f16 v55, v28, s15, v33
	v_sub_f16_e32 v56, v74, v75
	v_sub_f16_e32 v57, v61, v62
	;; [unrolled: 1-line block ×3, first 2 shown]
	v_fma_f16 v33, v28, s5, v33
	v_add_f16_e32 v57, v57, v58
	v_fma_f16 v33, v56, s4, v33
	v_fma_f16 v75, v57, s14, v33
	v_add_f16_e32 v33, v61, v64
	v_mul_f16_sdwa v86, v66, v12 dst_sel:DWORD dst_unused:UNUSED_PAD src0_sel:DWORD src1_sel:WORD_1
	v_fma_f16 v55, v56, s16, v55
	v_fma_f16 v33, v33, -0.5, v60
	v_mul_f16_sdwa v87, v29, v12 dst_sel:DWORD dst_unused:UNUSED_PAD src0_sel:DWORD src1_sel:WORD_1
	v_fma_f16 v29, v29, v12, -v86
	v_fma_f16 v74, v57, s14, v55
	v_fma_f16 v55, v56, s5, v33
	;; [unrolled: 1-line block ×5, first 2 shown]
	v_add_f16_e32 v33, v16, v29
	v_add_f16_e32 v33, v33, v77
	v_sub_f16_e32 v57, v62, v61
	v_sub_f16_e32 v58, v63, v64
	v_add_f16_e32 v33, v33, v78
	v_fma_f16 v66, v66, v12, v87
	v_add_f16_e32 v57, v57, v58
	v_add_f16_e32 v76, v33, v68
	;; [unrolled: 1-line block ×3, first 2 shown]
	v_fma_f16 v67, v67, v13, v89
	v_fma_f16 v63, v57, s14, v55
	v_fma_f16 v33, v33, -0.5, v16
	v_sub_f16_e32 v55, v66, v36
	v_fma_f16 v28, v57, s14, v28
	v_fma_f16 v56, v55, s5, v33
	v_sub_f16_e32 v57, v67, v27
	v_sub_f16_e32 v58, v29, v77
	;; [unrolled: 1-line block ×3, first 2 shown]
	v_fma_f16 v33, v55, s15, v33
	v_add_f16_e32 v58, v58, v59
	v_fma_f16 v33, v57, s16, v33
	v_fma_f16 v82, v58, s14, v33
	v_add_f16_e32 v33, v29, v68
	v_fma_f16 v56, v57, s4, v56
	v_fma_f16 v16, v33, -0.5, v16
	v_fma_f16 v81, v58, s14, v56
	v_fma_f16 v33, v57, s15, v16
	v_sub_f16_e32 v56, v77, v29
	v_sub_f16_e32 v58, v78, v68
	v_fma_f16 v33, v55, s4, v33
	v_add_f16_e32 v56, v56, v58
	v_fma_f16 v83, v56, s14, v33
	v_add_f16_e32 v33, v65, v66
	v_add_f16_e32 v33, v33, v67
	v_add_f16_e32 v33, v33, v27
	v_fma_f16 v16, v57, s5, v16
	v_add_f16_e32 v84, v33, v36
	v_add_f16_e32 v33, v67, v27
	v_fma_f16 v16, v55, s16, v16
	v_fma_f16 v33, v33, -0.5, v65
	v_sub_f16_e32 v29, v29, v68
	v_fma_f16 v16, v56, s14, v16
	v_fma_f16 v55, v29, s15, v33
	v_sub_f16_e32 v56, v77, v78
	v_sub_f16_e32 v57, v66, v67
	;; [unrolled: 1-line block ×3, first 2 shown]
	v_fma_f16 v33, v29, s5, v33
	v_add_f16_e32 v57, v57, v58
	v_fma_f16 v33, v56, s4, v33
	v_fma_f16 v77, v57, s14, v33
	v_add_f16_e32 v33, v66, v36
	v_fma_f16 v55, v56, s16, v55
	v_fma_f16 v33, v33, -0.5, v65
	v_fma_f16 v68, v57, s14, v55
	v_fma_f16 v55, v56, s5, v33
	v_sub_f16_e32 v57, v67, v66
	v_sub_f16_e32 v27, v27, v36
	v_fma_f16 v33, v56, s15, v33
	v_fma_f16 v55, v29, s16, v55
	v_add_f16_e32 v27, v57, v27
	v_fma_f16 v29, v29, s4, v33
	v_fma_f16 v36, v27, s14, v55
	;; [unrolled: 1-line block ×3, first 2 shown]
	v_add_f16_e32 v29, v20, v22
	v_fma_f16 v29, v29, -0.5, v34
	v_sub_f16_e32 v57, v21, v26
	v_fma_f16 v33, v57, s5, v29
	v_sub_f16_e32 v58, v23, v25
	v_sub_f16_e32 v55, v17, v20
	;; [unrolled: 1-line block ×3, first 2 shown]
	v_fma_f16 v29, v57, s15, v29
	v_fma_f16 v33, v58, s4, v33
	v_add_f16_e32 v55, v55, v56
	v_fma_f16 v29, v58, s16, v29
	v_fma_f16 v33, v55, s14, v33
	;; [unrolled: 1-line block ×3, first 2 shown]
	v_add_f16_e32 v29, v17, v24
	v_fma_f16 v29, v29, -0.5, v34
	v_fma_f16 v56, v58, s15, v29
	v_sub_f16_e32 v59, v20, v17
	v_sub_f16_e32 v60, v22, v24
	v_fma_f16 v29, v58, s5, v29
	v_add_f16_e32 v59, v59, v60
	v_fma_f16 v29, v57, s16, v29
	v_fma_f16 v56, v57, s4, v56
	;; [unrolled: 1-line block ×3, first 2 shown]
	v_add_f16_e32 v29, v23, v25
	v_fma_f16 v29, v29, -0.5, v32
	v_sub_f16_e32 v60, v17, v24
	v_fma_f16 v56, v59, s14, v56
	v_fma_f16 v58, v60, s15, v29
	v_sub_f16_e32 v61, v20, v22
	v_sub_f16_e32 v59, v21, v23
	;; [unrolled: 1-line block ×3, first 2 shown]
	v_fma_f16 v29, v60, s5, v29
	v_fma_f16 v58, v61, s16, v58
	v_add_f16_e32 v59, v59, v62
	v_fma_f16 v29, v61, s4, v29
	v_fma_f16 v64, v59, s14, v58
	;; [unrolled: 1-line block ×3, first 2 shown]
	v_add_f16_e32 v29, v21, v26
	v_fma_f16 v29, v29, -0.5, v32
	v_fma_f16 v59, v61, s5, v29
	v_sub_f16_e32 v62, v23, v21
	v_sub_f16_e32 v65, v25, v26
	v_fma_f16 v29, v61, s15, v29
	v_add_f16_e32 v62, v62, v65
	v_fma_f16 v29, v60, s4, v29
	v_fma_f16 v59, v60, s16, v59
	;; [unrolled: 1-line block ×3, first 2 shown]
	v_mul_u32_u24_e32 v29, 0x55, v43
	v_add_u32_sdwa v29, v29, v44 dst_sel:DWORD dst_unused:UNUSED_PAD src0_sel:DWORD src1_sel:BYTE_0
	v_add_lshl_u32 v61, v30, v29, 2
	v_pack_b32_f16 v29, v35, v37
	v_pack_b32_f16 v35, v38, v41
	ds_write2_b32 v61, v29, v35 offset1:17
	v_pack_b32_f16 v29, v42, v71
	v_pack_b32_f16 v18, v18, v39
	ds_write2_b32 v61, v29, v18 offset0:34 offset1:51
	v_pack_b32_f16 v18, v40, v70
	ds_write_b32 v61, v18 offset:272
	v_mul_u32_u24_e32 v18, 0x55, v45
	v_add_u32_sdwa v18, v18, v46 dst_sel:DWORD dst_unused:UNUSED_PAD src0_sel:DWORD src1_sel:BYTE_0
	v_fma_f16 v59, v62, s14, v59
	v_add_lshl_u32 v62, v30, v18, 2
	v_pack_b32_f16 v18, v69, v80
	v_pack_b32_f16 v29, v72, v74
	ds_write2_b32 v62, v18, v29 offset1:17
	v_pack_b32_f16 v18, v79, v63
	v_pack_b32_f16 v19, v19, v28
	ds_write2_b32 v62, v18, v19 offset0:34 offset1:51
	v_pack_b32_f16 v18, v73, v75
	ds_write_b32 v62, v18 offset:272
	v_mul_u32_u24_e32 v18, 0x55, v47
	v_add_u32_sdwa v18, v18, v50 dst_sel:DWORD dst_unused:UNUSED_PAD src0_sel:DWORD src1_sel:BYTE_0
	v_add_lshl_u32 v63, v30, v18, 2
	v_pack_b32_f16 v18, v76, v84
	v_pack_b32_f16 v19, v81, v68
	ds_write2_b32 v63, v18, v19 offset1:17
	v_pack_b32_f16 v18, v83, v36
	v_pack_b32_f16 v16, v16, v27
	ds_write2_b32 v63, v18, v16 offset0:34 offset1:51
	v_pack_b32_f16 v16, v82, v77
	ds_write_b32 v63, v16 offset:272
	s_and_saveexec_b64 s[4:5], s[0:1]
	s_cbranch_execz .LBB0_11
; %bb.10:
	v_add_f16_e32 v16, v32, v21
	v_add_f16_e32 v17, v34, v17
	;; [unrolled: 1-line block ×8, first 2 shown]
	v_add_lshl_u32 v18, v30, v137, 2
	s_mov_b32 s14, 0x5040100
	v_pack_b32_f16 v16, v17, v16
	v_perm_b32 v17, v64, v33, s14
	v_add_u32_e32 v19, 0x1200, v18
	ds_write2_b32 v19, v16, v17 offset0:123 offset1:140
	v_perm_b32 v16, v59, v56, s14
	v_perm_b32 v17, v60, v57, s14
	v_add_u32_e32 v19, 0x1400, v18
	ds_write2_b32 v19, v16, v17 offset0:29 offset1:46
	v_perm_b32 v16, v58, v55, s14
	ds_write_b32 v18, v16 offset:5372
.LBB0_11:
	s_or_b64 exec, exec, s[4:5]
	v_mad_u64_u32 v[28:29], s[2:3], v183, 60, s[2:3]
	s_waitcnt lgkmcnt(0)
	s_barrier
	global_load_dwordx4 v[16:19], v[28:29], off offset:272
	global_load_dwordx4 v[20:23], v[28:29], off offset:288
	;; [unrolled: 1-line block ×3, first 2 shown]
	ds_read2_b32 v[34:35], v53 offset1:85
	global_load_dwordx3 v[28:30], v[28:29], off offset:320
	v_add_u32_e32 v38, 0x400, v53
	v_add_u32_e32 v40, 0x800, v53
	v_add_u32_e32 v42, 0xa00, v53
	v_add_u32_e32 v44, 0xc00, v53
	v_add_u32_e32 v46, 0x1000, v53
	v_add_u32_e32 v32, 0x200, v53
	ds_read_b32 v50, v53 offset:680
	ds_read_b32 v65, v53 offset:5100
	ds_read2_b32 v[36:37], v32 offset0:127 offset1:212
	ds_read2_b32 v[38:39], v38 offset0:169 offset1:254
	;; [unrolled: 1-line block ×6, first 2 shown]
	s_waitcnt lgkmcnt(8)
	v_lshrrev_b32_e32 v66, 16, v35
	s_waitcnt lgkmcnt(6)
	v_lshrrev_b32_e32 v68, 16, v65
	s_waitcnt lgkmcnt(5)
	v_lshrrev_b32_e32 v70, 16, v37
	s_waitcnt lgkmcnt(1)
	v_lshrrev_b32_e32 v78, 16, v45
	s_waitcnt lgkmcnt(0)
	v_lshrrev_b32_e32 v79, 16, v46
	v_lshrrev_b32_e32 v80, 16, v47
	v_lshrrev_b32_e32 v72, 16, v39
	;; [unrolled: 1-line block ×11, first 2 shown]
	s_mov_b32 s2, 0xb9a8
	s_movk_i32 s3, 0x39a8
	s_mov_b32 s4, 0xbb64
	s_mov_b32 s5, 0xb61f
	s_movk_i32 s14, 0x361f
	s_movk_i32 s15, 0x3b64
	;; [unrolled: 1-line block ×3, first 2 shown]
	s_waitcnt vmcnt(3)
	v_mul_f16_sdwa v81, v66, v16 dst_sel:DWORD dst_unused:UNUSED_PAD src0_sel:DWORD src1_sel:WORD_1
	v_mul_f16_sdwa v82, v35, v16 dst_sel:DWORD dst_unused:UNUSED_PAD src0_sel:DWORD src1_sel:WORD_1
	s_waitcnt vmcnt(1)
	v_mul_f16_sdwa v103, v78, v27 dst_sel:DWORD dst_unused:UNUSED_PAD src0_sel:DWORD src1_sel:WORD_1
	v_fma_f16 v35, v35, v16, -v81
	v_fma_f16 v81, v45, v27, -v103
	v_mul_f16_sdwa v45, v45, v27 dst_sel:DWORD dst_unused:UNUSED_PAD src0_sel:DWORD src1_sel:WORD_1
	v_fma_f16 v45, v78, v27, v45
	s_waitcnt vmcnt(0)
	v_mul_f16_sdwa v78, v79, v28 dst_sel:DWORD dst_unused:UNUSED_PAD src0_sel:DWORD src1_sel:WORD_1
	v_fma_f16 v78, v46, v28, -v78
	v_mul_f16_sdwa v46, v46, v28 dst_sel:DWORD dst_unused:UNUSED_PAD src0_sel:DWORD src1_sel:WORD_1
	v_fma_f16 v46, v79, v28, v46
	v_mul_f16_sdwa v79, v80, v29 dst_sel:DWORD dst_unused:UNUSED_PAD src0_sel:DWORD src1_sel:WORD_1
	v_fma_f16 v79, v47, v29, -v79
	v_mul_f16_sdwa v47, v47, v29 dst_sel:DWORD dst_unused:UNUSED_PAD src0_sel:DWORD src1_sel:WORD_1
	v_mul_f16_sdwa v84, v50, v17 dst_sel:DWORD dst_unused:UNUSED_PAD src0_sel:DWORD src1_sel:WORD_1
	;; [unrolled: 1-line block ×8, first 2 shown]
	v_fma_f16 v47, v80, v29, v47
	v_mul_f16_sdwa v80, v68, v30 dst_sel:DWORD dst_unused:UNUSED_PAD src0_sel:DWORD src1_sel:WORD_1
	v_mul_f16_sdwa v83, v67, v17 dst_sel:DWORD dst_unused:UNUSED_PAD src0_sel:DWORD src1_sel:WORD_1
	;; [unrolled: 1-line block ×4, first 2 shown]
	v_fma_f16 v67, v67, v17, v84
	v_fma_f16 v37, v37, v19, -v87
	v_fma_f16 v70, v70, v19, v88
	v_fma_f16 v39, v39, v21, -v91
	v_fma_f16 v72, v72, v21, v92
	v_fma_f16 v74, v74, v23, v96
	;; [unrolled: 1-line block ×3, first 2 shown]
	v_fma_f16 v80, v65, v30, -v80
	v_mul_f16_sdwa v65, v65, v30 dst_sel:DWORD dst_unused:UNUSED_PAD src0_sel:DWORD src1_sel:WORD_1
	v_fma_f16 v50, v50, v17, -v83
	v_fma_f16 v41, v41, v23, -v95
	;; [unrolled: 1-line block ×3, first 2 shown]
	v_fma_f16 v65, v68, v30, v65
	v_sub_f16_e32 v68, v32, v74
	v_sub_f16_e32 v74, v37, v81
	;; [unrolled: 1-line block ×6, first 2 shown]
	v_mul_f16_sdwa v86, v36, v18 dst_sel:DWORD dst_unused:UNUSED_PAD src0_sel:DWORD src1_sel:WORD_1
	v_mul_f16_sdwa v90, v38, v20 dst_sel:DWORD dst_unused:UNUSED_PAD src0_sel:DWORD src1_sel:WORD_1
	;; [unrolled: 1-line block ×5, first 2 shown]
	v_sub_f16_e32 v41, v34, v41
	v_fma_f16 v32, v32, 2.0, -v68
	v_fma_f16 v37, v37, 2.0, -v74
	;; [unrolled: 1-line block ×3, first 2 shown]
	v_sub_f16_e32 v43, v50, v43
	v_fma_f16 v67, v67, 2.0, -v76
	v_fma_f16 v39, v39, 2.0, -v79
	;; [unrolled: 1-line block ×3, first 2 shown]
	v_add_f16_e32 v74, v68, v74
	v_add_f16_e32 v79, v76, v79
	v_mul_f16_sdwa v85, v69, v18 dst_sel:DWORD dst_unused:UNUSED_PAD src0_sel:DWORD src1_sel:WORD_1
	v_mul_f16_sdwa v89, v71, v20 dst_sel:DWORD dst_unused:UNUSED_PAD src0_sel:DWORD src1_sel:WORD_1
	;; [unrolled: 1-line block ×5, first 2 shown]
	v_fma_f16 v66, v66, v16, v82
	v_fma_f16 v69, v69, v18, v86
	;; [unrolled: 1-line block ×6, first 2 shown]
	v_fma_f16 v50, v50, 2.0, -v43
	v_sub_f16_e32 v70, v32, v70
	v_sub_f16_e32 v45, v41, v45
	v_fma_f16 v68, v68, 2.0, -v74
	v_sub_f16_e32 v72, v67, v72
	v_sub_f16_e32 v47, v43, v47
	v_fma_f16 v76, v76, 2.0, -v79
	v_fma_f16 v36, v36, v18, -v85
	v_fma_f16 v38, v38, v20, -v89
	v_fma_f16 v40, v40, v22, -v93
	v_fma_f16 v42, v42, v24, -v97
	v_fma_f16 v44, v44, v26, -v101
	v_fma_f16 v34, v34, 2.0, -v41
	v_sub_f16_e32 v75, v66, v75
	v_sub_f16_e32 v46, v71, v46
	;; [unrolled: 1-line block ×4, first 2 shown]
	v_fma_f16 v32, v32, 2.0, -v70
	v_fma_f16 v41, v41, 2.0, -v45
	v_sub_f16_e32 v39, v50, v39
	v_fma_f16 v67, v67, 2.0, -v72
	v_fma_f16 v43, v43, 2.0, -v47
	v_fma_f16 v82, v76, s2, v68
	v_sub_f16_e32 v42, v35, v42
	v_fma_f16 v66, v66, 2.0, -v75
	v_sub_f16_e32 v78, v38, v78
	v_fma_f16 v71, v71, 2.0, -v46
	;; [unrolled: 2-line block ×4, first 2 shown]
	v_sub_f16_e32 v37, v34, v37
	v_sub_f16_e32 v81, v32, v67
	v_fma_f16 v67, v43, s2, v41
	v_fma_f16 v43, v43, s3, v82
	v_add_f16_e32 v84, v70, v39
	v_fma_f16 v35, v35, 2.0, -v42
	v_fma_f16 v38, v38, 2.0, -v78
	;; [unrolled: 1-line block ×4, first 2 shown]
	v_sub_f16_e32 v71, v66, v71
	v_sub_f16_e32 v46, v42, v46
	v_add_f16_e32 v78, v75, v78
	v_sub_f16_e32 v73, v69, v73
	v_sub_f16_e32 v65, v44, v65
	v_add_f16_e32 v80, v77, v80
	v_fma_f16 v83, v76, s2, v67
	v_fma_f16 v67, v68, 2.0, -v43
	v_sub_f16_e32 v82, v37, v72
	v_fma_f16 v68, v70, 2.0, -v84
	v_fma_f16 v70, v79, s3, v74
	v_fma_f16 v34, v34, 2.0, -v37
	v_fma_f16 v50, v50, 2.0, -v39
	v_sub_f16_e32 v38, v35, v38
	v_fma_f16 v66, v66, 2.0, -v71
	v_fma_f16 v42, v42, 2.0, -v46
	;; [unrolled: 1-line block ×3, first 2 shown]
	v_sub_f16_e32 v40, v36, v40
	v_fma_f16 v69, v69, 2.0, -v73
	v_fma_f16 v44, v44, 2.0, -v65
	v_fma_f16 v77, v77, 2.0, -v80
	v_fma_f16 v39, v37, 2.0, -v82
	v_fma_f16 v37, v47, s3, v45
	v_fma_f16 v86, v47, s3, v70
	v_fma_f16 v35, v35, 2.0, -v38
	v_fma_f16 v36, v36, 2.0, -v40
	v_fma_f16 v85, v79, s2, v37
	v_fma_f16 v47, v74, 2.0, -v86
	v_sub_f16_e32 v74, v66, v69
	v_fma_f16 v37, v44, s2, v42
	v_fma_f16 v69, v77, s2, v75
	v_sub_f16_e32 v50, v34, v50
	v_fma_f16 v32, v32, 2.0, -v81
	v_sub_f16_e32 v36, v35, v36
	v_fma_f16 v66, v66, 2.0, -v74
	v_fma_f16 v77, v77, s2, v37
	v_fma_f16 v79, v44, s3, v69
	v_fma_f16 v34, v34, 2.0, -v50
	v_fma_f16 v41, v41, 2.0, -v83
	v_fma_f16 v35, v35, 2.0, -v36
	v_fma_f16 v42, v42, 2.0, -v77
	v_fma_f16 v44, v75, 2.0, -v79
	v_sub_f16_e32 v75, v38, v73
	v_add_f16_e32 v87, v71, v40
	v_fma_f16 v37, v65, s3, v46
	v_fma_f16 v40, v80, s3, v78
	v_sub_f16_e32 v69, v32, v66
	v_fma_f16 v38, v38, 2.0, -v75
	v_fma_f16 v88, v80, s2, v37
	v_fma_f16 v89, v65, s3, v40
	v_sub_f16_e32 v37, v34, v35
	v_fma_f16 v65, v32, 2.0, -v69
	v_fma_f16 v32, v42, s4, v41
	v_fma_f16 v45, v45, 2.0, -v85
	v_fma_f16 v70, v71, 2.0, -v87
	;; [unrolled: 1-line block ×4, first 2 shown]
	v_fma_f16 v34, v44, s4, v67
	v_fma_f16 v40, v44, s5, v32
	;; [unrolled: 1-line block ×3, first 2 shown]
	v_fma_f16 v71, v78, 2.0, -v89
	v_fma_f16 v72, v42, s14, v34
	v_fma_f16 v34, v41, 2.0, -v40
	v_fma_f16 v35, v70, s2, v68
	v_fma_f16 v41, v70, s2, v32
	;; [unrolled: 1-line block ×8, first 2 shown]
	v_add_f16_e32 v78, v81, v36
	v_fma_f16 v36, v79, s14, v43
	v_fma_f16 v46, v79, s4, v32
	;; [unrolled: 1-line block ×3, first 2 shown]
	v_fma_f16 v38, v45, 2.0, -v44
	v_fma_f16 v70, v47, 2.0, -v76
	v_sub_f16_e32 v45, v50, v74
	v_fma_f16 v79, v77, s15, v36
	v_fma_f16 v47, v87, s2, v32
	v_fma_f16 v67, v67, 2.0, -v72
	v_fma_f16 v35, v39, 2.0, -v41
	;; [unrolled: 1-line block ×5, first 2 shown]
	v_fma_f16 v36, v87, s3, v84
	v_fma_f16 v43, v82, 2.0, -v47
	v_fma_f16 v32, v88, s15, v85
	v_lshl_add_u32 v50, v183, 2, v176
	v_pack_b32_f16 v82, v66, v65
	v_fma_f16 v71, v81, 2.0, -v78
	v_fma_f16 v42, v83, 2.0, -v46
	v_fma_f16 v80, v75, s3, v36
	v_fma_f16 v36, v89, s15, v86
	;; [unrolled: 1-line block ×3, first 2 shown]
	ds_write_b32 v50, v82
	v_pack_b32_f16 v82, v34, v67
	v_pack_b32_f16 v83, v35, v68
	v_fma_f16 v75, v84, 2.0, -v80
	v_fma_f16 v81, v88, s14, v36
	v_fma_f16 v36, v85, 2.0, -v32
	ds_write2_b32 v50, v82, v83 offset0:85 offset1:170
	v_pack_b32_f16 v82, v38, v70
	v_pack_b32_f16 v83, v39, v71
	v_add_u32_e32 v85, 0x200, v50
	v_fma_f16 v77, v86, 2.0, -v81
	ds_write2_b32 v85, v82, v83 offset0:127 offset1:212
	v_pack_b32_f16 v82, v42, v74
	v_pack_b32_f16 v83, v43, v75
	v_add_u32_e32 v86, 0x400, v50
	ds_write2_b32 v86, v82, v83 offset0:169 offset1:254
	v_pack_b32_f16 v82, v36, v77
	v_pack_b32_f16 v83, v37, v69
	v_add_u32_e32 v87, 0x800, v50
	;; [unrolled: 4-line block ×5, first 2 shown]
	ds_write2_b32 v82, v88, v89 offset0:81 offset1:166
	v_pack_b32_f16 v88, v32, v81
	ds_write_b32 v50, v88 offset:5100
	s_waitcnt lgkmcnt(0)
	s_barrier
	s_and_saveexec_b64 s[4:5], vcc
	s_cbranch_execz .LBB0_13
; %bb.12:
	s_add_u32 s14, s6, 0x1540
	s_addc_u32 s15, s7, 0
	global_load_dword v90, v49, s[14:15]
	global_load_dword v98, v49, s[14:15] offset:320
	global_load_dword v99, v49, s[14:15] offset:640
	global_load_dword v100, v49, s[14:15] offset:960
	global_load_dword v101, v49, s[14:15] offset:1280
	global_load_dword v102, v49, s[14:15] offset:1600
	global_load_dword v103, v49, s[14:15] offset:1920
	global_load_dword v104, v49, s[14:15] offset:2240
	global_load_dword v105, v49, s[14:15] offset:2560
	global_load_dword v106, v49, s[14:15] offset:2880
	ds_read_b32 v91, v50
	global_load_dword v107, v49, s[14:15] offset:3200
	global_load_dword v108, v49, s[14:15] offset:3520
	;; [unrolled: 1-line block ×3, first 2 shown]
	v_mov_b32_e32 v88, s15
	v_add_co_u32_e64 v89, s[2:3], s14, v49
	v_addc_co_u32_e64 v93, s[2:3], 0, v88, s[2:3]
	v_add_co_u32_e64 v88, s[2:3], s16, v89
	v_addc_co_u32_e64 v89, s[2:3], 0, v93, s[2:3]
	v_or_b32_e32 v92, 0x1400, v49
	global_load_dword v110, v[88:89], off offset:64
	global_load_dword v111, v[88:89], off offset:384
	;; [unrolled: 1-line block ×3, first 2 shown]
	global_load_dword v113, v92, s[14:15]
	s_waitcnt lgkmcnt(0)
	v_lshrrev_b32_e32 v93, 16, v91
	s_waitcnt vmcnt(16)
	v_mul_f16_sdwa v88, v93, v90 dst_sel:DWORD dst_unused:UNUSED_PAD src0_sel:DWORD src1_sel:WORD_1
	v_mul_f16_sdwa v89, v91, v90 dst_sel:DWORD dst_unused:UNUSED_PAD src0_sel:DWORD src1_sel:WORD_1
	v_fma_f16 v88, v91, v90, -v88
	v_fma_f16 v89, v93, v90, v89
	v_pack_b32_f16 v88, v88, v89
	ds_write_b32 v50, v88
	ds_read2_b32 v[88:89], v50 offset0:80 offset1:160
	ds_read2_b32 v[90:91], v85 offset0:112 offset1:192
	;; [unrolled: 1-line block ×5, first 2 shown]
	s_waitcnt lgkmcnt(4)
	v_lshrrev_b32_e32 v114, 16, v88
	s_waitcnt vmcnt(15)
	v_mul_f16_sdwa v115, v88, v98 dst_sel:DWORD dst_unused:UNUSED_PAD src0_sel:DWORD src1_sel:WORD_1
	v_lshrrev_b32_e32 v116, 16, v89
	s_waitcnt vmcnt(14)
	v_mul_f16_sdwa v117, v89, v99 dst_sel:DWORD dst_unused:UNUSED_PAD src0_sel:DWORD src1_sel:WORD_1
	s_waitcnt lgkmcnt(3)
	v_lshrrev_b32_e32 v118, 16, v90
	s_waitcnt vmcnt(13)
	v_mul_f16_sdwa v119, v90, v100 dst_sel:DWORD dst_unused:UNUSED_PAD src0_sel:DWORD src1_sel:WORD_1
	v_lshrrev_b32_e32 v120, 16, v91
	s_waitcnt vmcnt(12)
	v_mul_f16_sdwa v121, v91, v101 dst_sel:DWORD dst_unused:UNUSED_PAD src0_sel:DWORD src1_sel:WORD_1
	;; [unrolled: 7-line block ×3, first 2 shown]
	s_waitcnt lgkmcnt(1)
	v_lshrrev_b32_e32 v126, 16, v94
	s_waitcnt vmcnt(9)
	v_mul_f16_sdwa v127, v94, v104 dst_sel:DWORD dst_unused:UNUSED_PAD src0_sel:DWORD src1_sel:WORD_1
	v_lshrrev_b32_e32 v128, 16, v95
	v_mul_f16_sdwa v131, v114, v98 dst_sel:DWORD dst_unused:UNUSED_PAD src0_sel:DWORD src1_sel:WORD_1
	v_fma_f16 v114, v114, v98, v115
	v_mul_f16_sdwa v115, v116, v99 dst_sel:DWORD dst_unused:UNUSED_PAD src0_sel:DWORD src1_sel:WORD_1
	s_waitcnt vmcnt(8)
	v_mul_f16_sdwa v129, v95, v105 dst_sel:DWORD dst_unused:UNUSED_PAD src0_sel:DWORD src1_sel:WORD_1
	v_fma_f16 v116, v116, v99, v117
	v_mul_f16_sdwa v117, v118, v100 dst_sel:DWORD dst_unused:UNUSED_PAD src0_sel:DWORD src1_sel:WORD_1
	v_fma_f16 v118, v118, v100, v119
	;; [unrolled: 2-line block ×6, first 2 shown]
	v_mul_f16_sdwa v127, v128, v105 dst_sel:DWORD dst_unused:UNUSED_PAD src0_sel:DWORD src1_sel:WORD_1
	v_fma_f16 v88, v88, v98, -v131
	v_fma_f16 v89, v89, v99, -v115
	s_waitcnt lgkmcnt(0)
	v_lshrrev_b32_e32 v130, 16, v96
	v_fma_f16 v128, v128, v105, v129
	v_fma_f16 v90, v90, v100, -v117
	v_fma_f16 v91, v91, v101, -v119
	;; [unrolled: 1-line block ×6, first 2 shown]
	v_pack_b32_f16 v88, v88, v114
	v_pack_b32_f16 v89, v89, v116
	s_waitcnt vmcnt(7)
	v_mul_f16_sdwa v129, v130, v106 dst_sel:DWORD dst_unused:UNUSED_PAD src0_sel:DWORD src1_sel:WORD_1
	v_pack_b32_f16 v90, v90, v118
	v_pack_b32_f16 v91, v91, v120
	;; [unrolled: 1-line block ×6, first 2 shown]
	ds_write2_b32 v50, v88, v89 offset0:80 offset1:160
	ds_write2_b32 v85, v90, v91 offset0:112 offset1:192
	;; [unrolled: 1-line block ×4, first 2 shown]
	v_mul_f16_sdwa v86, v96, v106 dst_sel:DWORD dst_unused:UNUSED_PAD src0_sel:DWORD src1_sel:WORD_1
	v_fma_f16 v85, v96, v106, -v129
	v_fma_f16 v86, v130, v106, v86
	v_lshrrev_b32_e32 v88, 16, v97
	v_pack_b32_f16 v87, v85, v86
	s_waitcnt vmcnt(6)
	v_mul_f16_sdwa v85, v88, v107 dst_sel:DWORD dst_unused:UNUSED_PAD src0_sel:DWORD src1_sel:WORD_1
	v_fma_f16 v89, v97, v107, -v85
	ds_read2_b32 v[85:86], v83 offset0:112 offset1:192
	v_mul_f16_sdwa v90, v97, v107 dst_sel:DWORD dst_unused:UNUSED_PAD src0_sel:DWORD src1_sel:WORD_1
	v_fma_f16 v88, v88, v107, v90
	v_pack_b32_f16 v88, v89, v88
	ds_write2_b32 v84, v87, v88 offset0:80 offset1:160
	s_waitcnt lgkmcnt(1)
	v_lshrrev_b32_e32 v84, 16, v85
	s_waitcnt vmcnt(5)
	v_mul_f16_sdwa v87, v84, v108 dst_sel:DWORD dst_unused:UNUSED_PAD src0_sel:DWORD src1_sel:WORD_1
	v_fma_f16 v87, v85, v108, -v87
	v_mul_f16_sdwa v85, v85, v108 dst_sel:DWORD dst_unused:UNUSED_PAD src0_sel:DWORD src1_sel:WORD_1
	v_fma_f16 v84, v84, v108, v85
	v_lshrrev_b32_e32 v88, 16, v86
	v_pack_b32_f16 v87, v87, v84
	s_waitcnt vmcnt(4)
	v_mul_f16_sdwa v84, v88, v109 dst_sel:DWORD dst_unused:UNUSED_PAD src0_sel:DWORD src1_sel:WORD_1
	v_fma_f16 v89, v86, v109, -v84
	ds_read2_b32 v[84:85], v82 offset0:16 offset1:96
	v_mul_f16_sdwa v86, v86, v109 dst_sel:DWORD dst_unused:UNUSED_PAD src0_sel:DWORD src1_sel:WORD_1
	v_fma_f16 v86, v88, v109, v86
	v_pack_b32_f16 v86, v89, v86
	ds_write2_b32 v83, v87, v86 offset0:112 offset1:192
	s_waitcnt lgkmcnt(1)
	v_lshrrev_b32_e32 v83, 16, v84
	s_waitcnt vmcnt(3)
	v_mul_f16_sdwa v86, v83, v110 dst_sel:DWORD dst_unused:UNUSED_PAD src0_sel:DWORD src1_sel:WORD_1
	v_fma_f16 v86, v84, v110, -v86
	v_mul_f16_sdwa v84, v84, v110 dst_sel:DWORD dst_unused:UNUSED_PAD src0_sel:DWORD src1_sel:WORD_1
	v_fma_f16 v83, v83, v110, v84
	v_lshrrev_b32_e32 v87, 16, v85
	v_pack_b32_f16 v86, v86, v83
	s_waitcnt vmcnt(2)
	v_mul_f16_sdwa v83, v87, v111 dst_sel:DWORD dst_unused:UNUSED_PAD src0_sel:DWORD src1_sel:WORD_1
	v_add_u32_e32 v89, 0x1200, v50
	v_fma_f16 v88, v85, v111, -v83
	ds_read2_b32 v[83:84], v89 offset0:48 offset1:128
	v_mul_f16_sdwa v85, v85, v111 dst_sel:DWORD dst_unused:UNUSED_PAD src0_sel:DWORD src1_sel:WORD_1
	v_fma_f16 v85, v87, v111, v85
	v_pack_b32_f16 v85, v88, v85
	ds_write2_b32 v82, v86, v85 offset0:16 offset1:96
	s_waitcnt lgkmcnt(1)
	v_lshrrev_b32_e32 v82, 16, v83
	s_waitcnt vmcnt(1)
	v_mul_f16_sdwa v85, v82, v112 dst_sel:DWORD dst_unused:UNUSED_PAD src0_sel:DWORD src1_sel:WORD_1
	v_fma_f16 v85, v83, v112, -v85
	v_mul_f16_sdwa v83, v83, v112 dst_sel:DWORD dst_unused:UNUSED_PAD src0_sel:DWORD src1_sel:WORD_1
	v_fma_f16 v82, v82, v112, v83
	v_lshrrev_b32_e32 v83, 16, v84
	v_pack_b32_f16 v82, v85, v82
	s_waitcnt vmcnt(0)
	v_mul_f16_sdwa v85, v83, v113 dst_sel:DWORD dst_unused:UNUSED_PAD src0_sel:DWORD src1_sel:WORD_1
	v_fma_f16 v85, v84, v113, -v85
	v_mul_f16_sdwa v84, v84, v113 dst_sel:DWORD dst_unused:UNUSED_PAD src0_sel:DWORD src1_sel:WORD_1
	v_fma_f16 v83, v83, v113, v84
	v_pack_b32_f16 v83, v85, v83
	ds_write2_b32 v89, v82, v83 offset0:48 offset1:128
.LBB0_13:
	s_or_b64 exec, exec, s[4:5]
	s_waitcnt lgkmcnt(0)
	s_barrier
	s_and_saveexec_b64 s[2:3], vcc
	s_cbranch_execz .LBB0_15
; %bb.14:
	v_add_u32_e32 v32, 0x200, v50
	ds_read_b32 v66, v50
	ds_read2_b32 v[34:35], v50 offset0:80 offset1:160
	ds_read2_b32 v[38:39], v32 offset0:112 offset1:192
	v_add_u32_e32 v32, 0x400, v50
	ds_read2_b32 v[42:43], v32 offset0:144 offset1:224
	v_add_u32_e32 v32, 0x800, v50
	;; [unrolled: 2-line block ×6, first 2 shown]
	ds_read2_b32 v[32:33], v32 offset0:48 offset1:128
	s_waitcnt lgkmcnt(8)
	v_lshrrev_b32_e32 v65, 16, v66
	s_waitcnt lgkmcnt(7)
	v_lshrrev_b32_e32 v67, 16, v34
	v_lshrrev_b32_e32 v68, 16, v35
	s_waitcnt lgkmcnt(6)
	v_lshrrev_b32_e32 v70, 16, v38
	;; [unrolled: 3-line block ×8, first 2 shown]
	v_lshrrev_b32_e32 v64, 16, v33
.LBB0_15:
	s_or_b64 exec, exec, s[2:3]
	v_sub_f16_e32 v160, v67, v64
	v_add_f16_e32 v96, v33, v34
	v_add_f16_e32 v101, v64, v67
	s_movk_i32 s4, 0x3b76
	v_mul_f16_e32 v86, 0xb5c8, v160
	v_sub_f16_e32 v161, v68, v81
	v_sub_f16_e32 v162, v34, v33
	s_mov_b32 s2, 0xb5c8
	v_mul_f16_e32 v88, 0x3b76, v101
	v_fma_f16 v82, v96, s4, -v86
	s_movk_i32 s5, 0x39e9
	v_add_f16_e32 v102, v32, v35
	v_add_f16_e32 v108, v81, v68
	v_mul_f16_e32 v87, 0xb964, v161
	v_add_f16_e32 v82, v66, v82
	v_fma_f16 v83, v162, s2, v88
	s_mov_b32 s2, 0xb964
	v_mul_f16_e32 v91, 0xb964, v160
	v_sub_f16_e32 v164, v35, v32
	v_mul_f16_e32 v89, 0x39e9, v108
	v_fma_f16 v90, v102, s5, -v87
	v_add_f16_e32 v83, v65, v83
	v_mul_f16_e32 v95, 0x39e9, v101
	v_fma_f16 v84, v96, s5, -v91
	v_add_f16_e32 v82, v90, v82
	v_fma_f16 v90, v164, s2, v89
	s_movk_i32 s14, 0x2de8
	v_mul_f16_e32 v94, 0xbbf7, v161
	v_add_f16_e32 v84, v66, v84
	v_fma_f16 v85, v162, s2, v95
	v_add_f16_e32 v83, v90, v83
	s_mov_b32 s2, 0xbbf7
	v_mul_f16_e32 v99, 0x2de8, v108
	v_fma_f16 v90, v102, s14, -v94
	v_add_f16_e32 v85, v65, v85
	v_add_f16_e32 v84, v90, v84
	v_fma_f16 v90, v164, s2, v99
	v_sub_f16_e32 v163, v70, v80
	v_add_f16_e32 v85, v90, v85
	v_add_f16_e32 v107, v47, v38
	v_add_f16_e32 v113, v80, v70
	s_movk_i32 s15, 0x3722
	v_mul_f16_e32 v90, 0xbb29, v163
	v_sub_f16_e32 v166, v38, v47
	s_mov_b32 s3, 0xbb29
	v_mul_f16_e32 v93, 0x3722, v113
	v_fma_f16 v92, v107, s15, -v90
	v_add_f16_e32 v82, v92, v82
	v_fma_f16 v92, v166, s3, v93
	s_mov_b32 s16, 0xb8d2
	v_mul_f16_e32 v100, 0xba62, v163
	v_add_f16_e32 v83, v92, v83
	s_mov_b32 s3, 0xba62
	v_mul_f16_e32 v106, 0xb8d2, v113
	v_fma_f16 v92, v107, s16, -v100
	v_add_f16_e32 v84, v92, v84
	v_fma_f16 v92, v166, s3, v106
	v_sub_f16_e32 v165, v71, v79
	v_add_f16_e32 v85, v92, v85
	v_add_f16_e32 v114, v46, v39
	;; [unrolled: 1-line block ×3, first 2 shown]
	v_mul_f16_e32 v92, 0xbbf7, v165
	v_sub_f16_e32 v168, v39, v46
	v_mul_f16_e32 v97, 0x2de8, v120
	v_fma_f16 v98, v114, s14, -v92
	v_add_f16_e32 v82, v98, v82
	v_fma_f16 v98, v168, s2, v97
	s_mov_b32 s17, 0xbbdd
	v_mul_f16_e32 v105, 0xb1e1, v165
	v_add_f16_e32 v83, v98, v83
	s_mov_b32 s2, 0xb1e1
	v_mul_f16_e32 v111, 0xbbdd, v120
	v_fma_f16 v98, v114, s17, -v105
	v_add_f16_e32 v84, v98, v84
	v_fma_f16 v98, v168, s2, v111
	v_sub_f16_e32 v167, v74, v78
	v_add_f16_e32 v85, v98, v85
	v_add_f16_e32 v119, v45, v42
	;; [unrolled: 1-line block ×3, first 2 shown]
	s_mov_b32 s18, 0xb461
	v_mul_f16_e32 v98, 0xbbb2, v167
	v_sub_f16_e32 v170, v42, v45
	s_mov_b32 s19, 0xbbb2
	v_mul_f16_e32 v104, 0xb461, v125
	v_fma_f16 v103, v119, s18, -v98
	v_add_f16_e32 v82, v103, v82
	v_fma_f16 v103, v170, s19, v104
	s_mov_b32 s19, 0xbacd
	v_mul_f16_e32 v112, 0x3836, v167
	v_add_f16_e32 v83, v103, v83
	s_movk_i32 s20, 0x3836
	v_mul_f16_e32 v118, 0xbacd, v125
	v_fma_f16 v103, v119, s19, -v112
	v_add_f16_e32 v84, v103, v84
	v_fma_f16 v103, v170, s20, v118
	v_sub_f16_e32 v169, v75, v76
	v_add_f16_e32 v85, v103, v85
	v_add_f16_e32 v126, v44, v43
	;; [unrolled: 1-line block ×3, first 2 shown]
	v_mul_f16_e32 v103, 0xba62, v169
	v_sub_f16_e32 v172, v43, v44
	v_mul_f16_e32 v110, 0xb8d2, v136
	v_fma_f16 v109, v126, s16, -v103
	v_add_f16_e32 v82, v109, v82
	v_fma_f16 v109, v172, s3, v110
	v_mul_f16_e32 v117, 0x3bb2, v169
	v_add_f16_e32 v83, v109, v83
	s_movk_i32 s3, 0x3bb2
	v_mul_f16_e32 v124, 0xb461, v136
	v_fma_f16 v109, v126, s18, -v117
	v_add_f16_e32 v84, v109, v84
	v_fma_f16 v109, v172, s3, v124
	v_sub_f16_e32 v171, v77, v73
	v_add_f16_e32 v85, v109, v85
	v_add_f16_e32 v134, v41, v36
	;; [unrolled: 1-line block ×3, first 2 shown]
	v_mul_f16_e32 v109, 0xb836, v171
	v_sub_f16_e32 v174, v36, v41
	s_mov_b32 s3, 0xb836
	v_mul_f16_e32 v116, 0xbacd, v147
	v_fma_f16 v115, v134, s19, -v109
	v_add_f16_e32 v82, v115, v82
	v_fma_f16 v115, v174, s3, v116
	v_mul_f16_e32 v123, 0x3b29, v171
	v_add_f16_e32 v83, v115, v83
	s_movk_i32 s3, 0x3b29
	v_mul_f16_e32 v131, 0x3722, v147
	v_fma_f16 v115, v134, s15, -v123
	v_sub_f16_e32 v173, v69, v72
	v_add_f16_e32 v122, v115, v84
	v_fma_f16 v84, v174, s3, v131
	v_add_f16_e32 v145, v40, v37
	v_add_f16_e32 v156, v72, v69
	v_mul_f16_e32 v115, 0xb1e1, v173
	v_add_f16_e32 v127, v84, v85
	v_sub_f16_e32 v175, v37, v40
	v_mul_f16_e32 v121, 0xbbdd, v156
	v_fma_f16 v84, v145, s17, -v115
	v_add_f16_e32 v84, v84, v82
	v_fma_f16 v82, v175, s2, v121
	s_movk_i32 s2, 0x35c8
	v_mul_f16_e32 v129, 0x35c8, v173
	v_mul_f16_e32 v142, 0x3b76, v156
	v_add_f16_e32 v85, v82, v83
	v_fma_f16 v82, v145, s4, -v129
	v_fma_f16 v83, v175, s2, v142
	v_add_f16_e32 v82, v82, v122
	v_add_f16_e32 v83, v83, v127
	s_barrier
	s_and_saveexec_b64 s[2:3], vcc
	s_cbranch_execz .LBB0_17
; %bb.16:
	v_mul_f16_e32 v150, 0xb964, v162
	v_mul_f16_e32 v177, 0xbbf7, v164
	v_sub_f16_e32 v95, v95, v150
	v_mul_f16_e32 v178, 0xba62, v166
	v_add_f16_e32 v95, v65, v95
	v_sub_f16_e32 v99, v99, v177
	v_mul_f16_e32 v179, 0xb1e1, v168
	v_add_f16_e32 v95, v99, v95
	v_sub_f16_e32 v99, v106, v178
	v_mul_f16_e32 v180, 0x3836, v170
	v_add_f16_e32 v95, v99, v95
	v_sub_f16_e32 v99, v111, v179
	v_mul_f16_e32 v51, 0x3b76, v96
	v_mul_f16_e32 v181, 0x3bb2, v172
	v_add_f16_e32 v95, v99, v95
	v_sub_f16_e32 v99, v118, v180
	buffer_store_dword v51, off, s[36:39], 0 offset:4 ; 4-byte Folded Spill
	v_mul_f16_e32 v51, 0xb5c8, v162
	v_mul_f16_e32 v182, 0x3b29, v174
	v_add_f16_e32 v95, v99, v95
	v_sub_f16_e32 v99, v124, v181
	buffer_store_dword v51, off, s[36:39], 0 offset:40 ; 4-byte Folded Spill
	;; [unrolled: 5-line block ×3, first 2 shown]
	v_add_f16_e32 v95, v99, v95
	v_sub_f16_e32 v99, v142, v184
	v_add_f16_e32 v95, v99, v95
	buffer_load_dword v99, off, s[36:39], 0 offset:72 ; 4-byte Folded Reload
	v_mul_f16_e32 v152, 0x2de8, v102
	v_mul_f16_e32 v154, 0xb8d2, v107
	v_add_f16_e32 v94, v152, v94
	v_mul_f16_e32 v155, 0xbbdd, v114
	v_mul_f16_e32 v157, 0xbacd, v119
	;; [unrolled: 1-line block ×6, first 2 shown]
	buffer_store_dword v51, off, s[36:39], 0 offset:8 ; 4-byte Folded Spill
	v_mul_f16_e32 v51, 0xb964, v164
	buffer_store_dword v51, off, s[36:39], 0 offset:44 ; 4-byte Folded Spill
	v_mul_f16_e32 v51, 0x3722, v107
	;; [unrolled: 2-line block ×14, first 2 shown]
	v_fma_f16 v122, v101, s15, v185
	v_mul_f16_e32 v186, 0xba62, v164
	v_add_f16_e32 v122, v65, v122
	v_fma_f16 v135, v108, s16, v186
	v_mul_f16_e32 v187, 0x31e1, v166
	v_add_f16_e32 v122, v135, v122
	;; [unrolled: 3-line block ×8, first 2 shown]
	v_fma_f16 v135, v96, s15, -v193
	v_mul_f16_e32 v194, 0xba62, v161
	v_add_f16_e32 v135, v66, v135
	v_fma_f16 v153, v102, s16, -v194
	v_mul_f16_e32 v195, 0x31e1, v163
	v_add_f16_e32 v135, v153, v135
	;; [unrolled: 3-line block ×6, first 2 shown]
	s_waitcnt vmcnt(14)
	v_add_f16_e32 v91, v99, v91
	v_add_f16_e32 v91, v66, v91
	;; [unrolled: 1-line block ×15, first 2 shown]
	buffer_load_dword v94, off, s[36:39], 0 offset:40 ; 4-byte Folded Reload
	v_fma_f16 v153, v134, s14, -v199
	v_mul_f16_e32 v200, 0xb836, v173
	v_add_f16_e32 v135, v153, v135
	v_fma_f16 v153, v145, s19, -v200
	v_mul_f16_e32 v201, 0xbbf7, v162
	buffer_store_dword v51, off, s[36:39], 0 ; 4-byte Folded Spill
	v_add_f16_e32 v51, v153, v135
	v_fma_f16 v153, v101, s14, v201
	v_mul_f16_e32 v202, 0xb1e1, v164
	v_add_f16_e32 v153, v65, v153
	v_fma_f16 v203, v108, s17, v202
	v_add_f16_e32 v153, v203, v153
	v_mul_f16_e32 v203, 0x3bb2, v166
	v_fma_f16 v204, v113, s18, v203
	v_add_f16_e32 v153, v204, v153
	v_mul_f16_e32 v204, 0x35c8, v168
	;; [unrolled: 3-line block ×7, first 2 shown]
	v_fma_f16 v210, v96, s14, -v209
	v_mul_f16_e32 v211, 0xb1e1, v161
	v_add_f16_e32 v210, v66, v210
	v_fma_f16 v212, v102, s17, -v211
	v_add_f16_e32 v210, v212, v210
	v_mul_f16_e32 v212, 0x3bb2, v163
	v_fma_f16 v213, v107, s18, -v212
	v_add_f16_e32 v210, v213, v210
	v_mul_f16_e32 v213, 0x35c8, v165
	;; [unrolled: 3-line block ×7, first 2 shown]
	v_fma_f16 v219, v101, s18, v218
	v_mul_f16_e32 v220, 0x3836, v164
	v_add_f16_e32 v219, v65, v219
	v_fma_f16 v221, v108, s19, v220
	v_add_f16_e32 v219, v221, v219
	v_mul_f16_e32 v221, 0x3964, v166
	v_fma_f16 v222, v113, s5, v221
	v_add_f16_e32 v219, v222, v219
	v_mul_f16_e32 v222, 0xbb29, v168
	;; [unrolled: 3-line block ×7, first 2 shown]
	s_waitcnt vmcnt(1)
	v_sub_f16_e32 v88, v88, v94
	buffer_load_dword v94, off, s[36:39], 0 offset:44 ; 4-byte Folded Reload
	v_add_f16_e32 v88, v65, v88
	v_fma_f16 v228, v96, s18, -v227
	v_mul_f16_e32 v229, 0x3836, v161
	v_add_f16_e32 v228, v66, v228
	v_fma_f16 v230, v102, s19, -v229
	v_add_f16_e32 v228, v230, v228
	v_mul_f16_e32 v230, 0x3964, v163
	v_fma_f16 v231, v107, s5, -v230
	v_add_f16_e32 v228, v231, v228
	v_mul_f16_e32 v231, 0xbb29, v165
	;; [unrolled: 3-line block ×7, first 2 shown]
	v_fma_f16 v237, v101, s16, v236
	v_mul_f16_e32 v238, 0x3bb2, v164
	v_add_f16_e32 v237, v65, v237
	v_fma_f16 v239, v108, s18, v238
	v_add_f16_e32 v237, v239, v237
	v_mul_f16_e32 v239, 0xb5c8, v166
	v_fma_f16 v240, v113, s4, v239
	v_add_f16_e32 v237, v240, v237
	v_mul_f16_e32 v240, 0xb836, v168
	;; [unrolled: 3-line block ×7, first 2 shown]
	v_fma_f16 v246, v96, s16, -v245
	v_mul_f16_e32 v247, 0x3bb2, v161
	v_add_f16_e32 v246, v66, v246
	v_fma_f16 v248, v102, s18, -v247
	v_add_f16_e32 v246, v248, v246
	v_mul_f16_e32 v248, 0xb5c8, v163
	v_fma_f16 v249, v107, s4, -v248
	v_add_f16_e32 v246, v249, v246
	v_mul_f16_e32 v249, 0xb836, v165
	;; [unrolled: 3-line block ×7, first 2 shown]
	v_fma_f16 v255, v101, s19, v254
	v_mul_f16_e32 v52, 0x3b29, v164
	buffer_store_dword v51, off, s[36:39], 0 offset:24 ; 4-byte Folded Spill
	v_add_f16_e32 v255, v65, v255
	v_fma_f16 v51, v108, s15, v52
	v_add_f16_e32 v51, v51, v255
	s_waitcnt vmcnt(1)
	v_sub_f16_e32 v89, v89, v94
	v_add_f16_e32 v88, v89, v88
	buffer_load_dword v89, off, s[36:39], 0 offset:48 ; 4-byte Folded Reload
	v_mul_f16_e32 v255, 0xbbf7, v166
	v_fma_f16 v54, v113, s14, v255
	v_add_f16_e32 v51, v54, v51
	v_mul_f16_e32 v54, 0x3a62, v168
	v_fma_f16 v122, v120, s16, v54
	v_add_f16_e32 v51, v122, v51
	;; [unrolled: 3-line block ×6, first 2 shown]
	v_mul_f16_e32 v132, 0xb836, v160
	v_fma_f16 v133, v96, s19, -v132
	v_mov_b32_e32 v51, v48
	v_mul_f16_e32 v48, 0x3b29, v161
	v_add_f16_e32 v133, v66, v133
	v_fma_f16 v135, v102, s15, -v48
	v_add_f16_e32 v133, v135, v133
	v_mul_f16_e32 v135, 0xbbf7, v163
	v_fma_f16 v138, v107, s14, -v135
	v_add_f16_e32 v133, v138, v133
	v_mul_f16_e32 v138, 0x3a62, v165
	;; [unrolled: 3-line block ×7, first 2 shown]
	v_fma_f16 v162, v101, s17, v144
	v_mul_f16_e32 v164, 0x35c8, v164
	v_add_f16_e32 v162, v65, v162
	v_fma_f16 v146, v108, s4, v164
	v_add_f16_e32 v146, v146, v162
	v_mul_f16_e32 v162, 0xb836, v166
	v_fma_f16 v166, v113, s19, v162
	v_add_f16_e32 v146, v166, v146
	v_mul_f16_e32 v166, 0x3964, v168
	;; [unrolled: 3-line block ×6, first 2 shown]
	v_fma_f16 v175, v156, s14, v174
	v_mul_f16_e32 v160, 0xb1e1, v160
	v_add_f16_e32 v146, v175, v146
	v_fma_f16 v175, v96, s17, -v160
	v_mul_f16_e32 v161, 0x35c8, v161
	v_fma_f16 v160, v96, s17, v160
	v_fma_f16 v148, v102, s4, -v161
	v_mul_f16_e32 v163, 0xb836, v163
	v_add_f16_e32 v160, v66, v160
	v_fma_f16 v161, v102, s4, v161
	v_mul_f16_e32 v165, 0x3964, v165
	v_add_f16_e32 v160, v161, v160
	v_fma_f16 v161, v107, s19, v163
	v_mul_f16_e32 v167, 0xba62, v167
	s_waitcnt vmcnt(0)
	v_sub_f16_e32 v89, v93, v89
	v_add_f16_e32 v88, v89, v88
	buffer_load_dword v89, off, s[36:39], 0 offset:52 ; 4-byte Folded Reload
	v_add_f16_e32 v160, v161, v160
	v_fma_f16 v161, v114, s5, v165
	v_mul_f16_e32 v169, 0x3b29, v169
	v_add_f16_e32 v160, v161, v160
	v_fma_f16 v161, v119, s16, v167
	v_mul_f16_e32 v171, 0xbbb2, v171
	v_add_f16_e32 v160, v161, v160
	v_fma_f16 v161, v126, s15, v169
	v_mul_f16_e32 v173, 0x3bf7, v173
	v_add_f16_e32 v160, v161, v160
	v_fma_f16 v161, v134, s18, v171
	v_add_f16_e32 v160, v161, v160
	v_fma_f16 v161, v145, s14, v173
	v_add_f16_e32 v160, v161, v160
	v_fma_f16 v161, v101, s19, -v254
	v_add_f16_e32 v161, v65, v161
	v_fma_f16 v52, v108, s15, -v52
	;; [unrolled: 2-line block ×8, first 2 shown]
	v_add_f16_e32 v52, v54, v52
	v_fma_f16 v54, v96, s19, v132
	v_add_f16_e32 v54, v66, v54
	v_fma_f16 v48, v102, s15, v48
	;; [unrolled: 2-line block ×8, first 2 shown]
	v_add_f16_e32 v48, v54, v48
	v_fma_f16 v54, v101, s16, -v236
	v_add_f16_e32 v54, v65, v54
	v_fma_f16 v122, v108, s18, -v238
	;; [unrolled: 2-line block ×8, first 2 shown]
	v_add_f16_e32 v54, v122, v54
	v_fma_f16 v122, v96, s16, v245
	v_add_f16_e32 v122, v66, v122
	v_fma_f16 v127, v102, s18, v247
	;; [unrolled: 2-line block ×8, first 2 shown]
	v_add_f16_e32 v122, v127, v122
	v_fma_f16 v127, v101, s18, -v218
	s_waitcnt vmcnt(0)
	v_sub_f16_e32 v89, v97, v89
	v_add_f16_e32 v88, v89, v88
	buffer_load_dword v89, off, s[36:39], 0 offset:56 ; 4-byte Folded Reload
	v_add_f16_e32 v127, v65, v127
	v_fma_f16 v128, v108, s19, -v220
	v_add_f16_e32 v34, v34, v66
	v_add_f16_e32 v127, v128, v127
	v_fma_f16 v128, v113, s5, -v221
	v_add_f16_e32 v34, v35, v34
	;; [unrolled: 3-line block ×7, first 2 shown]
	v_add_f16_e32 v127, v128, v127
	v_fma_f16 v128, v96, s18, v227
	v_add_f16_e32 v34, v37, v34
	v_add_f16_e32 v128, v66, v128
	v_fma_f16 v130, v102, s19, v229
	v_add_f16_e32 v34, v40, v34
	;; [unrolled: 3-line block ×8, first 2 shown]
	v_add_f16_e32 v128, v130, v128
	v_fma_f16 v130, v101, s14, -v201
	v_add_f16_e32 v32, v33, v32
	v_add_f16_e32 v33, v67, v65
	;; [unrolled: 1-line block ×3, first 2 shown]
	v_fma_f16 v132, v108, s17, -v202
	v_add_f16_e32 v33, v68, v33
	v_add_f16_e32 v130, v132, v130
	v_fma_f16 v132, v113, s18, -v203
	v_add_f16_e32 v33, v70, v33
	v_add_f16_e32 v130, v132, v130
	;; [unrolled: 3-line block ×6, first 2 shown]
	v_fma_f16 v132, v156, s5, -v208
	v_add_f16_e32 v33, v69, v33
	v_fma_f16 v144, v101, s17, -v144
	v_add_f16_e32 v130, v132, v130
	v_fma_f16 v132, v96, s14, v209
	v_fma_f16 v101, v101, s15, -v185
	v_fma_f16 v96, v96, s15, v193
	v_add_f16_e32 v33, v72, v33
	v_fma_f16 v164, v108, s4, -v164
	v_fma_f16 v135, v102, s17, v211
	v_add_f16_e32 v101, v65, v101
	s_waitcnt vmcnt(0)
	v_sub_f16_e32 v89, v104, v89
	v_add_f16_e32 v88, v89, v88
	buffer_load_dword v89, off, s[36:39], 0 offset:60 ; 4-byte Folded Reload
	v_fma_f16 v108, v108, s16, -v186
	v_add_f16_e32 v96, v66, v96
	v_fma_f16 v102, v102, s16, v194
	v_add_f16_e32 v33, v73, v33
	v_add_f16_e32 v132, v66, v132
	;; [unrolled: 1-line block ×3, first 2 shown]
	v_fma_f16 v108, v113, s17, -v187
	v_add_f16_e32 v96, v102, v96
	v_fma_f16 v102, v107, s17, v195
	v_add_f16_e32 v33, v76, v33
	v_add_f16_e32 v132, v135, v132
	v_fma_f16 v135, v107, s18, v212
	v_add_f16_e32 v101, v108, v101
	v_fma_f16 v108, v120, s18, -v188
	v_add_f16_e32 v96, v102, v96
	v_fma_f16 v102, v114, s18, v196
	v_add_f16_e32 v33, v78, v33
	v_add_f16_e32 v175, v66, v175
	;; [unrolled: 1-line block ×4, first 2 shown]
	v_fma_f16 v135, v114, s4, v213
	v_add_f16_e32 v101, v108, v101
	v_fma_f16 v108, v125, s5, -v189
	v_add_f16_e32 v96, v102, v96
	v_fma_f16 v102, v119, s5, v197
	v_add_f16_e32 v33, v79, v33
	v_add_f16_e32 v148, v148, v175
	v_fma_f16 v175, v107, s19, -v163
	v_add_f16_e32 v144, v164, v144
	v_fma_f16 v162, v113, s19, -v162
	v_add_f16_e32 v132, v135, v132
	v_fma_f16 v135, v119, s15, v214
	v_add_f16_e32 v101, v108, v101
	v_fma_f16 v108, v136, s4, -v190
	v_add_f16_e32 v96, v102, v96
	v_fma_f16 v102, v126, s4, v198
	v_add_f16_e32 v33, v80, v33
	v_add_f16_e32 v148, v175, v148
	v_fma_f16 v175, v114, s5, -v165
	v_add_f16_e32 v144, v162, v144
	v_fma_f16 v162, v120, s5, -v166
	v_add_f16_e32 v132, v135, v132
	;; [unrolled: 11-line block ×4, first 2 shown]
	v_fma_f16 v135, v145, s5, v217
	v_add_f16_e32 v101, v108, v101
	v_add_f16_e32 v96, v102, v96
	v_lshl_add_u32 v34, v51, 2, v176
	v_pack_b32_f16 v32, v32, v33
	v_add_f16_e32 v148, v175, v148
	v_fma_f16 v175, v134, s18, -v171
	v_add_f16_e32 v144, v162, v144
	v_fma_f16 v162, v147, s18, -v172
	v_add_f16_e32 v132, v135, v132
	v_pack_b32_f16 v33, v96, v101
	v_add_f16_e32 v148, v175, v148
	v_fma_f16 v175, v145, s14, -v173
	v_add_f16_e32 v144, v162, v144
	v_fma_f16 v162, v156, s14, -v174
	s_waitcnt vmcnt(0)
	v_sub_f16_e32 v89, v110, v89
	v_add_f16_e32 v88, v89, v88
	buffer_load_dword v89, off, s[36:39], 0 offset:64 ; 4-byte Folded Reload
	v_add_f16_e32 v148, v175, v148
	v_add_f16_e32 v144, v162, v144
	s_mov_b32 s4, 0x5040100
	s_waitcnt vmcnt(0)
	v_sub_f16_e32 v89, v116, v89
	v_add_f16_e32 v88, v89, v88
	buffer_load_dword v89, off, s[36:39], 0 offset:68 ; 4-byte Folded Reload
	s_waitcnt vmcnt(0)
	v_sub_f16_e32 v89, v121, v89
	v_add_f16_e32 v88, v89, v88
	buffer_load_dword v89, off, s[36:39], 0 offset:4 ; 4-byte Folded Reload
	s_waitcnt vmcnt(0)
	v_add_f16_e32 v86, v89, v86
	buffer_load_dword v89, off, s[36:39], 0 offset:8 ; 4-byte Folded Reload
	v_add_f16_e32 v86, v66, v86
	s_waitcnt vmcnt(0)
	v_add_f16_e32 v87, v89, v87
	v_add_f16_e32 v86, v87, v86
	buffer_load_dword v87, off, s[36:39], 0 offset:12 ; 4-byte Folded Reload
	s_waitcnt vmcnt(0)
	v_add_f16_e32 v87, v87, v90
	v_add_f16_e32 v86, v87, v86
	buffer_load_dword v87, off, s[36:39], 0 offset:16 ; 4-byte Folded Reload
	;; [unrolled: 4-line block ×6, first 2 shown]
	s_waitcnt vmcnt(0)
	v_add_f16_e32 v87, v87, v115
	v_add_f16_e32 v86, v87, v86
	v_pack_b32_f16 v35, v86, v88
	ds_write2_b32 v34, v32, v35 offset1:1
	v_pack_b32_f16 v32, v91, v95
	ds_write2_b32 v34, v32, v33 offset0:2 offset1:3
	v_pack_b32_f16 v32, v128, v127
	v_pack_b32_f16 v33, v132, v130
	ds_write2_b32 v34, v33, v32 offset0:4 offset1:5
	v_pack_b32_f16 v32, v48, v52
	;; [unrolled: 3-line block ×5, first 2 shown]
	v_pack_b32_f16 v33, v228, v219
	ds_write2_b32 v34, v33, v32 offset0:12 offset1:13
	buffer_load_dword v32, off, s[36:39], 0 ; 4-byte Folded Reload
	buffer_load_dword v33, off, s[36:39], 0 offset:24 ; 4-byte Folded Reload
	s_waitcnt vmcnt(0)
	v_pack_b32_f16 v32, v33, v32
	v_perm_b32 v33, v83, v82, s4
	ds_write2_b32 v34, v32, v33 offset0:14 offset1:15
	v_perm_b32 v32, v85, v84, s4
	ds_write_b32 v34, v32 offset:64
.LBB0_17:
	s_or_b64 exec, exec, s[2:3]
	v_add_u32_e32 v38, 0x1000, v53
	s_waitcnt lgkmcnt(0)
	s_barrier
	v_add_u32_e32 v36, 0x800, v53
	ds_read2_b32 v[44:45], v38 offset0:64 offset1:149
	v_add_u32_e32 v38, 0x400, v53
	v_add_u32_e32 v32, 0x200, v53
	ds_read2_b32 v[42:43], v36 offset0:32 offset1:117
	v_add_u32_e32 v36, 0xa00, v53
	ds_read2_b32 v[40:41], v38 offset0:101 offset1:186
	v_add_u32_e32 v38, 0xc00, v53
	ds_read2_b32 v[34:35], v53 offset1:85
	ds_read2_b32 v[32:33], v32 offset0:42 offset1:144
	ds_read2_b32 v[36:37], v36 offset0:74 offset1:176
	;; [unrolled: 1-line block ×3, first 2 shown]
	ds_read_b32 v46, v53 offset:5032
	s_and_saveexec_b64 s[2:3], s[0:1]
	s_cbranch_execz .LBB0_19
; %bb.18:
	ds_read_b32 v82, v53 offset:1020
	ds_read_b32 v84, v53 offset:2108
	;; [unrolled: 1-line block ×5, first 2 shown]
	s_waitcnt lgkmcnt(4)
	v_lshrrev_b32_e32 v83, 16, v82
	s_waitcnt lgkmcnt(3)
	v_lshrrev_b32_e32 v85, 16, v84
	;; [unrolled: 2-line block ×5, first 2 shown]
.LBB0_19:
	s_or_b64 exec, exec, s[2:3]
	s_waitcnt lgkmcnt(3)
	v_lshrrev_b32_e32 v48, 16, v33
	v_mul_f16_sdwa v74, v4, v48 dst_sel:DWORD dst_unused:UNUSED_PAD src0_sel:WORD_1 src1_sel:DWORD
	v_lshrrev_b32_e32 v51, 16, v42
	v_fma_f16 v74, v4, v33, v74
	v_mul_f16_sdwa v33, v4, v33 dst_sel:DWORD dst_unused:UNUSED_PAD src0_sel:WORD_1 src1_sel:DWORD
	v_fma_f16 v4, v4, v48, -v33
	v_mul_f16_sdwa v33, v5, v51 dst_sel:DWORD dst_unused:UNUSED_PAD src0_sel:WORD_1 src1_sel:DWORD
	s_waitcnt lgkmcnt(2)
	v_lshrrev_b32_e32 v52, 16, v37
	v_fma_f16 v33, v5, v42, v33
	v_mul_f16_sdwa v42, v5, v42 dst_sel:DWORD dst_unused:UNUSED_PAD src0_sel:WORD_1 src1_sel:DWORD
	v_fma_f16 v5, v5, v51, -v42
	v_mul_f16_sdwa v42, v6, v52 dst_sel:DWORD dst_unused:UNUSED_PAD src0_sel:WORD_1 src1_sel:DWORD
	v_lshrrev_b32_e32 v54, 16, v44
	v_fma_f16 v42, v6, v37, v42
	v_mul_f16_sdwa v37, v6, v37 dst_sel:DWORD dst_unused:UNUSED_PAD src0_sel:WORD_1 src1_sel:DWORD
	v_fma_f16 v6, v6, v52, -v37
	v_mul_f16_sdwa v37, v7, v54 dst_sel:DWORD dst_unused:UNUSED_PAD src0_sel:WORD_1 src1_sel:DWORD
	;; [unrolled: 5-line block ×4, first 2 shown]
	s_waitcnt lgkmcnt(1)
	v_lshrrev_b32_e32 v67, 16, v38
	v_fma_f16 v40, v9, v43, v40
	v_mul_f16_sdwa v43, v9, v43 dst_sel:DWORD dst_unused:UNUSED_PAD src0_sel:WORD_1 src1_sel:DWORD
	v_fma_f16 v9, v9, v66, -v43
	v_mul_f16_sdwa v43, v10, v67 dst_sel:DWORD dst_unused:UNUSED_PAD src0_sel:WORD_1 src1_sel:DWORD
	v_lshrrev_b32_e32 v68, 16, v45
	v_fma_f16 v43, v10, v38, v43
	v_mul_f16_sdwa v38, v10, v38 dst_sel:DWORD dst_unused:UNUSED_PAD src0_sel:WORD_1 src1_sel:DWORD
	v_fma_f16 v10, v10, v67, -v38
	v_mul_f16_sdwa v38, v11, v68 dst_sel:DWORD dst_unused:UNUSED_PAD src0_sel:WORD_1 src1_sel:DWORD
	;; [unrolled: 5-line block ×5, first 2 shown]
	v_add_f16_e32 v48, v33, v42
	s_waitcnt lgkmcnt(0)
	v_lshrrev_b32_e32 v73, 16, v46
	v_fma_f16 v36, v14, v39, v36
	v_mul_f16_sdwa v39, v14, v39 dst_sel:DWORD dst_unused:UNUSED_PAD src0_sel:WORD_1 src1_sel:DWORD
	v_fma_f16 v48, v48, -0.5, v34
	v_sub_f16_e32 v51, v4, v7
	s_mov_b32 s4, 0xbb9c
	s_movk_i32 s15, 0x3b9c
	v_fma_f16 v14, v14, v72, -v39
	v_mul_f16_sdwa v39, v15, v73 dst_sel:DWORD dst_unused:UNUSED_PAD src0_sel:WORD_1 src1_sel:DWORD
	v_fma_f16 v52, v51, s4, v48
	v_sub_f16_e32 v54, v5, v6
	s_mov_b32 s5, 0xb8b4
	v_sub_f16_e32 v65, v74, v33
	v_sub_f16_e32 v66, v37, v42
	v_fma_f16 v48, v51, s15, v48
	s_movk_i32 s16, 0x38b4
	v_fma_f16 v39, v15, v46, v39
	v_mul_f16_sdwa v46, v15, v46 dst_sel:DWORD dst_unused:UNUSED_PAD src0_sel:WORD_1 src1_sel:DWORD
	v_fma_f16 v52, v54, s5, v52
	v_add_f16_e32 v65, v65, v66
	s_movk_i32 s14, 0x34f2
	v_fma_f16 v48, v54, s16, v48
	v_fma_f16 v15, v15, v73, -v46
	v_add_f16_e32 v46, v34, v74
	v_fma_f16 v52, v65, s14, v52
	v_fma_f16 v48, v65, s14, v48
	v_add_f16_e32 v65, v74, v37
	v_lshrrev_b32_e32 v47, 16, v34
	v_add_f16_e32 v46, v46, v33
	v_fma_f16 v34, v65, -0.5, v34
	v_add_f16_e32 v46, v46, v42
	v_fma_f16 v65, v54, s15, v34
	v_sub_f16_e32 v66, v33, v74
	v_sub_f16_e32 v67, v42, v37
	v_fma_f16 v34, v54, s4, v34
	v_add_f16_e32 v54, v5, v6
	v_add_f16_e32 v46, v46, v37
	v_fma_f16 v65, v51, s5, v65
	v_add_f16_e32 v66, v66, v67
	v_fma_f16 v34, v51, s16, v34
	v_fma_f16 v54, v54, -0.5, v47
	v_sub_f16_e32 v37, v74, v37
	v_fma_f16 v65, v66, s14, v65
	v_fma_f16 v34, v66, s14, v34
	;; [unrolled: 1-line block ×3, first 2 shown]
	v_sub_f16_e32 v33, v33, v42
	v_fma_f16 v42, v33, s16, v66
	v_sub_f16_e32 v66, v4, v5
	v_sub_f16_e32 v67, v7, v6
	v_fma_f16 v54, v37, s4, v54
	v_add_f16_e32 v51, v47, v4
	v_add_f16_e32 v66, v66, v67
	v_fma_f16 v54, v33, s5, v54
	v_add_f16_e32 v51, v51, v5
	v_fma_f16 v42, v66, s14, v42
	v_fma_f16 v54, v66, s14, v54
	v_add_f16_e32 v66, v4, v7
	v_add_f16_e32 v51, v51, v6
	v_fma_f16 v47, v66, -0.5, v47
	v_add_f16_e32 v51, v51, v7
	v_fma_f16 v66, v33, s4, v47
	v_sub_f16_e32 v4, v5, v4
	v_sub_f16_e32 v5, v6, v7
	v_add_f16_e32 v7, v40, v43
	v_fma_f16 v66, v37, s16, v66
	v_add_f16_e32 v4, v4, v5
	v_fma_f16 v6, v33, s15, v47
	v_fma_f16 v7, v7, -0.5, v35
	v_sub_f16_e32 v33, v8, v11
	v_fma_f16 v5, v4, s14, v66
	v_fma_f16 v6, v37, s5, v6
	;; [unrolled: 1-line block ×3, first 2 shown]
	v_sub_f16_e32 v47, v9, v10
	v_sub_f16_e32 v66, v44, v40
	;; [unrolled: 1-line block ×3, first 2 shown]
	v_fma_f16 v7, v33, s15, v7
	v_fma_f16 v37, v47, s5, v37
	v_add_f16_e32 v66, v66, v67
	v_fma_f16 v7, v47, s16, v7
	v_fma_f16 v4, v4, s14, v6
	v_add_f16_e32 v6, v35, v44
	;; [unrolled: 3-line block ×3, first 2 shown]
	v_lshrrev_b32_e32 v64, 16, v35
	v_add_f16_e32 v6, v6, v40
	v_fma_f16 v35, v66, -0.5, v35
	v_add_f16_e32 v6, v6, v43
	v_fma_f16 v66, v47, s15, v35
	v_fma_f16 v35, v47, s4, v35
	v_add_f16_e32 v47, v9, v10
	v_add_f16_e32 v6, v6, v38
	v_sub_f16_e32 v67, v40, v44
	v_sub_f16_e32 v68, v43, v38
	v_fma_f16 v47, v47, -0.5, v64
	v_sub_f16_e32 v38, v44, v38
	v_fma_f16 v66, v33, s5, v66
	v_add_f16_e32 v67, v67, v68
	v_fma_f16 v33, v33, s16, v35
	v_fma_f16 v44, v38, s15, v47
	v_sub_f16_e32 v40, v40, v43
	v_fma_f16 v66, v67, s14, v66
	v_fma_f16 v33, v67, s14, v33
	;; [unrolled: 1-line block ×3, first 2 shown]
	v_sub_f16_e32 v44, v8, v9
	v_sub_f16_e32 v67, v11, v10
	v_fma_f16 v47, v38, s4, v47
	v_add_f16_e32 v35, v64, v8
	v_add_f16_e32 v44, v44, v67
	v_fma_f16 v47, v40, s5, v47
	v_add_f16_e32 v35, v35, v9
	v_fma_f16 v43, v44, s14, v43
	v_fma_f16 v44, v44, s14, v47
	v_add_f16_e32 v47, v8, v11
	v_add_f16_e32 v35, v35, v10
	v_fma_f16 v47, v47, -0.5, v64
	v_add_f16_e32 v35, v35, v11
	v_fma_f16 v64, v40, s4, v47
	v_sub_f16_e32 v8, v9, v8
	v_sub_f16_e32 v9, v10, v11
	v_fma_f16 v10, v40, s15, v47
	v_add_f16_e32 v11, v41, v36
	v_fma_f16 v64, v38, s16, v64
	v_add_f16_e32 v8, v8, v9
	v_fma_f16 v10, v38, s5, v10
	v_fma_f16 v11, v11, -0.5, v32
	v_sub_f16_e32 v38, v12, v15
	v_fma_f16 v9, v8, s14, v64
	v_fma_f16 v40, v38, s4, v11
	v_sub_f16_e32 v47, v13, v14
	v_sub_f16_e32 v64, v45, v41
	;; [unrolled: 1-line block ×3, first 2 shown]
	v_fma_f16 v11, v38, s15, v11
	v_fma_f16 v40, v47, s5, v40
	v_add_f16_e32 v64, v64, v67
	v_fma_f16 v11, v47, s16, v11
	v_fma_f16 v8, v8, s14, v10
	v_add_f16_e32 v10, v32, v45
	;; [unrolled: 3-line block ×3, first 2 shown]
	v_lshrrev_b32_e32 v69, 16, v32
	v_add_f16_e32 v10, v10, v41
	v_fma_f16 v32, v64, -0.5, v32
	v_add_f16_e32 v10, v10, v36
	v_fma_f16 v64, v47, s15, v32
	v_fma_f16 v32, v47, s4, v32
	v_add_f16_e32 v47, v13, v14
	v_add_f16_e32 v10, v10, v39
	v_sub_f16_e32 v67, v41, v45
	v_sub_f16_e32 v68, v36, v39
	v_fma_f16 v47, v47, -0.5, v69
	v_sub_f16_e32 v39, v45, v39
	v_fma_f16 v64, v38, s5, v64
	v_add_f16_e32 v67, v67, v68
	v_fma_f16 v32, v38, s16, v32
	v_fma_f16 v45, v39, s15, v47
	v_sub_f16_e32 v36, v41, v36
	v_fma_f16 v64, v67, s14, v64
	v_fma_f16 v32, v67, s14, v32
	v_fma_f16 v41, v36, s16, v45
	v_sub_f16_e32 v45, v12, v13
	v_sub_f16_e32 v67, v15, v14
	v_fma_f16 v47, v39, s4, v47
	v_add_f16_e32 v45, v45, v67
	v_fma_f16 v47, v36, s5, v47
	v_add_f16_e32 v38, v69, v12
	v_fma_f16 v41, v45, s14, v41
	v_fma_f16 v45, v45, s14, v47
	v_add_f16_e32 v47, v12, v15
	v_add_f16_e32 v38, v38, v13
	v_fma_f16 v47, v47, -0.5, v69
	v_add_f16_e32 v38, v38, v14
	v_fma_f16 v67, v36, s4, v47
	v_sub_f16_e32 v12, v13, v12
	v_sub_f16_e32 v13, v14, v15
	v_fma_f16 v14, v36, s15, v47
	v_pack_b32_f16 v5, v65, v5
	v_pack_b32_f16 v4, v34, v4
	v_fma_f16 v67, v39, s16, v67
	v_add_f16_e32 v12, v12, v13
	v_fma_f16 v14, v39, s5, v14
	s_barrier
	ds_write2_b32 v61, v5, v4 offset0:34 offset1:51
	v_pack_b32_f16 v4, v48, v54
	v_add_f16_e32 v38, v38, v15
	v_fma_f16 v13, v12, s14, v67
	v_fma_f16 v12, v12, s14, v14
	v_pack_b32_f16 v14, v46, v51
	v_pack_b32_f16 v15, v52, v42
	ds_write_b32 v61, v4 offset:272
	v_pack_b32_f16 v4, v6, v35
	v_pack_b32_f16 v5, v37, v43
	ds_write2_b32 v61, v14, v15 offset1:17
	ds_write2_b32 v62, v4, v5 offset1:17
	v_pack_b32_f16 v4, v66, v9
	v_pack_b32_f16 v5, v33, v8
	ds_write2_b32 v62, v4, v5 offset0:34 offset1:51
	v_pack_b32_f16 v4, v7, v44
	ds_write_b32 v62, v4 offset:272
	v_pack_b32_f16 v4, v10, v38
	v_pack_b32_f16 v5, v40, v41
	ds_write2_b32 v63, v4, v5 offset1:17
	v_pack_b32_f16 v4, v64, v13
	v_pack_b32_f16 v5, v32, v12
	ds_write2_b32 v63, v4, v5 offset0:34 offset1:51
	v_pack_b32_f16 v4, v11, v45
	ds_write_b32 v63, v4 offset:272
	s_and_saveexec_b64 s[2:3], s[0:1]
	s_cbranch_execz .LBB0_21
; %bb.20:
	v_mul_f16_sdwa v6, v1, v56 dst_sel:DWORD dst_unused:UNUSED_PAD src0_sel:WORD_1 src1_sel:DWORD
	v_mul_f16_sdwa v10, v1, v59 dst_sel:DWORD dst_unused:UNUSED_PAD src0_sel:WORD_1 src1_sel:DWORD
	;; [unrolled: 1-line block ×4, first 2 shown]
	v_fma_f16 v6, v1, v59, -v6
	v_mul_f16_sdwa v7, v0, v84 dst_sel:DWORD dst_unused:UNUSED_PAD src0_sel:WORD_1 src1_sel:DWORD
	v_fma_f16 v1, v1, v56, v10
	v_mul_f16_sdwa v10, v2, v60 dst_sel:DWORD dst_unused:UNUSED_PAD src0_sel:WORD_1 src1_sel:DWORD
	v_fma_f16 v4, v3, v58, -v4
	v_fma_f16 v5, v2, v60, -v5
	;; [unrolled: 1-line block ×3, first 2 shown]
	v_fma_f16 v2, v2, v57, v10
	v_mul_f16_sdwa v10, v3, v58 dst_sel:DWORD dst_unused:UNUSED_PAD src0_sel:WORD_1 src1_sel:DWORD
	v_mul_f16_sdwa v9, v0, v85 dst_sel:DWORD dst_unused:UNUSED_PAD src0_sel:WORD_1 src1_sel:DWORD
	v_fma_f16 v3, v3, v55, v10
	v_sub_f16_e32 v10, v6, v7
	v_sub_f16_e32 v11, v5, v4
	v_add_f16_e32 v12, v7, v4
	v_fma_f16 v0, v0, v84, v9
	v_add_f16_e32 v10, v10, v11
	v_sub_f16_e32 v11, v1, v2
	v_fma_f16 v12, v12, -0.5, v83
	v_fma_f16 v13, v11, s15, v12
	v_sub_f16_e32 v14, v0, v3
	v_fma_f16 v12, v11, s4, v12
	v_fma_f16 v13, v14, s5, v13
	v_fma_f16 v12, v14, s16, v12
	v_fma_f16 v13, v10, s14, v13
	v_fma_f16 v10, v10, s14, v12
	v_sub_f16_e32 v12, v7, v6
	v_sub_f16_e32 v15, v4, v5
	v_add_f16_e32 v12, v12, v15
	v_add_f16_e32 v15, v6, v5
	;; [unrolled: 1-line block ×3, first 2 shown]
	v_fma_f16 v15, v15, -0.5, v83
	v_add_f16_e32 v8, v6, v8
	v_fma_f16 v32, v14, s4, v15
	v_fma_f16 v14, v14, s15, v15
	v_add_f16_e32 v8, v5, v8
	v_add_f16_e32 v9, v0, v82
	v_fma_f16 v32, v11, s5, v32
	v_fma_f16 v11, v11, s16, v14
	v_add_f16_e32 v8, v4, v8
	v_add_f16_e32 v9, v1, v9
	v_fma_f16 v32, v12, s14, v32
	v_fma_f16 v11, v12, s14, v11
	v_sub_f16_e32 v12, v1, v0
	v_sub_f16_e32 v4, v7, v4
	v_add_f16_e32 v7, v0, v3
	v_sub_f16_e32 v0, v0, v1
	v_add_f16_e32 v1, v1, v2
	v_add_f16_e32 v9, v2, v9
	v_fma_f16 v1, v1, -0.5, v82
	v_add_f16_e32 v9, v3, v9
	v_sub_f16_e32 v14, v2, v3
	v_fma_f16 v7, v7, -0.5, v82
	v_sub_f16_e32 v5, v6, v5
	v_sub_f16_e32 v3, v3, v2
	v_fma_f16 v2, v4, s15, v1
	v_fma_f16 v1, v4, s4, v1
	;; [unrolled: 1-line block ×4, first 2 shown]
	v_add_f16_e32 v0, v0, v3
	v_fma_f16 v2, v5, s16, v2
	v_fma_f16 v1, v5, s5, v1
	v_add_f16_e32 v12, v12, v14
	v_fma_f16 v6, v4, s16, v6
	v_fma_f16 v7, v4, s5, v7
	;; [unrolled: 1-line block ×4, first 2 shown]
	v_lshl_add_u32 v1, v137, 2, v176
	v_fma_f16 v6, v12, s14, v6
	v_fma_f16 v7, v12, s14, v7
	v_pack_b32_f16 v3, v9, v8
	v_pack_b32_f16 v0, v0, v11
	v_add_u32_e32 v4, 0x1200, v1
	ds_write2_b32 v4, v3, v0 offset0:123 offset1:140
	v_pack_b32_f16 v0, v7, v10
	v_pack_b32_f16 v3, v6, v13
	v_add_u32_e32 v4, 0x1400, v1
	ds_write2_b32 v4, v0, v3 offset0:29 offset1:46
	v_pack_b32_f16 v0, v2, v32
	ds_write_b32 v1, v0 offset:5372
.LBB0_21:
	s_or_b64 exec, exec, s[2:3]
	s_waitcnt lgkmcnt(0)
	s_barrier
	ds_read2_b32 v[0:1], v53 offset1:85
	ds_read_b32 v15, v53 offset:680
	v_add_u32_e32 v2, 0x200, v53
	ds_read2_b32 v[2:3], v2 offset0:127 offset1:212
	ds_read_b32 v33, v53 offset:5100
	v_add_u32_e32 v4, 0x400, v53
	s_waitcnt lgkmcnt(3)
	v_lshrrev_b32_e32 v32, 16, v1
	v_mul_f16_sdwa v48, v16, v32 dst_sel:DWORD dst_unused:UNUSED_PAD src0_sel:WORD_1 src1_sel:DWORD
	s_waitcnt lgkmcnt(2)
	v_lshrrev_b32_e32 v34, 16, v15
	v_fma_f16 v48, v16, v1, v48
	v_mul_f16_sdwa v1, v16, v1 dst_sel:DWORD dst_unused:UNUSED_PAD src0_sel:WORD_1 src1_sel:DWORD
	ds_read2_b32 v[4:5], v4 offset0:169 offset1:254
	v_fma_f16 v1, v16, v32, -v1
	v_mul_f16_sdwa v16, v17, v34 dst_sel:DWORD dst_unused:UNUSED_PAD src0_sel:WORD_1 src1_sel:DWORD
	s_waitcnt lgkmcnt(2)
	v_lshrrev_b32_e32 v35, 16, v2
	v_fma_f16 v16, v17, v15, v16
	v_mul_f16_sdwa v15, v17, v15 dst_sel:DWORD dst_unused:UNUSED_PAD src0_sel:WORD_1 src1_sel:DWORD
	v_fma_f16 v15, v17, v34, -v15
	v_mul_f16_sdwa v17, v18, v35 dst_sel:DWORD dst_unused:UNUSED_PAD src0_sel:WORD_1 src1_sel:DWORD
	v_lshrrev_b32_e32 v36, 16, v3
	v_add_u32_e32 v6, 0x800, v53
	v_fma_f16 v17, v18, v2, v17
	v_mul_f16_sdwa v2, v18, v2 dst_sel:DWORD dst_unused:UNUSED_PAD src0_sel:WORD_1 src1_sel:DWORD
	ds_read2_b32 v[6:7], v6 offset0:83 offset1:168
	v_fma_f16 v2, v18, v35, -v2
	v_mul_f16_sdwa v18, v19, v36 dst_sel:DWORD dst_unused:UNUSED_PAD src0_sel:WORD_1 src1_sel:DWORD
	s_waitcnt lgkmcnt(1)
	v_lshrrev_b32_e32 v37, 16, v4
	v_fma_f16 v18, v19, v3, v18
	v_mul_f16_sdwa v3, v19, v3 dst_sel:DWORD dst_unused:UNUSED_PAD src0_sel:WORD_1 src1_sel:DWORD
	v_fma_f16 v3, v19, v36, -v3
	v_mul_f16_sdwa v19, v20, v37 dst_sel:DWORD dst_unused:UNUSED_PAD src0_sel:WORD_1 src1_sel:DWORD
	v_lshrrev_b32_e32 v38, 16, v5
	v_add_u32_e32 v8, 0xa00, v53
	;; [unrolled: 13-line block ×3, first 2 shown]
	v_fma_f16 v21, v22, v6, v21
	v_mul_f16_sdwa v6, v22, v6 dst_sel:DWORD dst_unused:UNUSED_PAD src0_sel:WORD_1 src1_sel:DWORD
	ds_read2_b32 v[10:11], v10 offset0:167 offset1:252
	v_fma_f16 v6, v22, v39, -v6
	v_mul_f16_sdwa v22, v23, v40 dst_sel:DWORD dst_unused:UNUSED_PAD src0_sel:WORD_1 src1_sel:DWORD
	s_waitcnt lgkmcnt(1)
	v_lshrrev_b32_e32 v41, 16, v8
	v_fma_f16 v22, v23, v7, v22
	v_mul_f16_sdwa v7, v23, v7 dst_sel:DWORD dst_unused:UNUSED_PAD src0_sel:WORD_1 src1_sel:DWORD
	v_fma_f16 v7, v23, v40, -v7
	v_mul_f16_sdwa v23, v24, v41 dst_sel:DWORD dst_unused:UNUSED_PAD src0_sel:WORD_1 src1_sel:DWORD
	v_add_u32_e32 v12, 0x1000, v53
	v_lshrrev_b32_e32 v42, 16, v9
	v_fma_f16 v23, v24, v8, v23
	v_mul_f16_sdwa v8, v24, v8 dst_sel:DWORD dst_unused:UNUSED_PAD src0_sel:WORD_1 src1_sel:DWORD
	ds_read2_b32 v[12:13], v12 offset0:81 offset1:166
	v_fma_f16 v8, v24, v41, -v8
	v_mul_f16_sdwa v24, v25, v42 dst_sel:DWORD dst_unused:UNUSED_PAD src0_sel:WORD_1 src1_sel:DWORD
	s_waitcnt lgkmcnt(1)
	v_lshrrev_b32_e32 v43, 16, v10
	v_fma_f16 v24, v25, v9, v24
	v_mul_f16_sdwa v9, v25, v9 dst_sel:DWORD dst_unused:UNUSED_PAD src0_sel:WORD_1 src1_sel:DWORD
	v_fma_f16 v9, v25, v42, -v9
	v_mul_f16_sdwa v25, v26, v43 dst_sel:DWORD dst_unused:UNUSED_PAD src0_sel:WORD_1 src1_sel:DWORD
	v_lshrrev_b32_e32 v44, 16, v11
	v_fma_f16 v25, v26, v10, v25
	v_mul_f16_sdwa v10, v26, v10 dst_sel:DWORD dst_unused:UNUSED_PAD src0_sel:WORD_1 src1_sel:DWORD
	v_fma_f16 v10, v26, v43, -v10
	v_mul_f16_sdwa v26, v27, v44 dst_sel:DWORD dst_unused:UNUSED_PAD src0_sel:WORD_1 src1_sel:DWORD
	s_waitcnt lgkmcnt(0)
	v_lshrrev_b32_e32 v45, 16, v12
	v_fma_f16 v26, v27, v11, v26
	v_mul_f16_sdwa v11, v27, v11 dst_sel:DWORD dst_unused:UNUSED_PAD src0_sel:WORD_1 src1_sel:DWORD
	v_fma_f16 v11, v27, v44, -v11
	v_mul_f16_sdwa v27, v28, v45 dst_sel:DWORD dst_unused:UNUSED_PAD src0_sel:WORD_1 src1_sel:DWORD
	v_lshrrev_b32_e32 v46, 16, v13
	v_fma_f16 v27, v28, v12, v27
	v_mul_f16_sdwa v12, v28, v12 dst_sel:DWORD dst_unused:UNUSED_PAD src0_sel:WORD_1 src1_sel:DWORD
	v_fma_f16 v12, v28, v45, -v12
	v_mul_f16_sdwa v28, v29, v46 dst_sel:DWORD dst_unused:UNUSED_PAD src0_sel:WORD_1 src1_sel:DWORD
	v_fma_f16 v28, v29, v13, v28
	v_mul_f16_sdwa v13, v29, v13 dst_sel:DWORD dst_unused:UNUSED_PAD src0_sel:WORD_1 src1_sel:DWORD
	v_lshrrev_b32_e32 v47, 16, v33
	v_fma_f16 v13, v29, v46, -v13
	v_lshrrev_b32_e32 v14, 16, v0
	v_mul_f16_sdwa v29, v30, v47 dst_sel:DWORD dst_unused:UNUSED_PAD src0_sel:WORD_1 src1_sel:DWORD
	v_mul_f16_sdwa v32, v30, v33 dst_sel:DWORD dst_unused:UNUSED_PAD src0_sel:WORD_1 src1_sel:DWORD
	v_sub_f16_e32 v22, v0, v22
	v_sub_f16_e32 v11, v3, v11
	;; [unrolled: 1-line block ×4, first 2 shown]
	v_fma_f16 v29, v30, v33, v29
	v_fma_f16 v30, v30, v47, -v32
	v_sub_f16_e32 v7, v14, v7
	v_sub_f16_e32 v26, v18, v26
	v_fma_f16 v3, v3, 2.0, -v11
	v_sub_f16_e32 v9, v15, v9
	v_sub_f16_e32 v28, v20, v28
	v_fma_f16 v5, v5, 2.0, -v13
	v_add_f16_e32 v11, v22, v11
	v_add_f16_e32 v13, v24, v13
	v_fma_f16 v0, v0, 2.0, -v22
	v_fma_f16 v18, v18, 2.0, -v26
	;; [unrolled: 1-line block ×4, first 2 shown]
	v_sub_f16_e32 v23, v48, v23
	v_sub_f16_e32 v12, v4, v12
	;; [unrolled: 1-line block ×5, first 2 shown]
	v_fma_f16 v22, v22, 2.0, -v11
	v_sub_f16_e32 v28, v9, v28
	v_fma_f16 v24, v24, 2.0, -v13
	s_mov_b32 s0, 0xb9a8
	v_fma_f16 v14, v14, 2.0, -v7
	v_fma_f16 v15, v15, 2.0, -v9
	v_sub_f16_e32 v8, v1, v8
	v_sub_f16_e32 v27, v19, v27
	v_fma_f16 v4, v4, 2.0, -v12
	v_sub_f16_e32 v10, v2, v10
	v_sub_f16_e32 v29, v21, v29
	v_fma_f16 v6, v6, 2.0, -v30
	v_fma_f16 v7, v7, 2.0, -v26
	v_fma_f16 v9, v9, 2.0, -v28
	v_add_f16_e32 v12, v23, v12
	v_add_f16_e32 v30, v25, v30
	v_fma_f16 v33, v24, s0, v22
	s_movk_i32 s1, 0x39a8
	v_fma_f16 v32, v48, 2.0, -v23
	v_fma_f16 v19, v19, 2.0, -v27
	v_fma_f16 v17, v17, 2.0, -v25
	v_fma_f16 v21, v21, 2.0, -v29
	v_sub_f16_e32 v27, v8, v27
	v_fma_f16 v23, v23, 2.0, -v12
	v_sub_f16_e32 v29, v10, v29
	v_fma_f16 v25, v25, 2.0, -v30
	v_fma_f16 v34, v9, s0, v7
	v_fma_f16 v9, v9, s1, v33
	;; [unrolled: 1-line block ×3, first 2 shown]
	v_fma_f16 v1, v1, 2.0, -v8
	v_fma_f16 v2, v2, 2.0, -v10
	;; [unrolled: 1-line block ×4, first 2 shown]
	v_fma_f16 v24, v24, s0, v34
	v_fma_f16 v34, v28, s1, v26
	;; [unrolled: 1-line block ×7, first 2 shown]
	v_sub_f16_e32 v18, v0, v18
	v_sub_f16_e32 v3, v14, v3
	;; [unrolled: 1-line block ×8, first 2 shown]
	v_fma_f16 v22, v22, 2.0, -v9
	v_fma_f16 v25, v25, s0, v34
	v_fma_f16 v23, v23, 2.0, -v10
	v_fma_f16 v33, v30, s1, v12
	s_mov_b32 s2, 0xbb64
	v_fma_f16 v16, v16, 2.0, -v20
	v_fma_f16 v15, v15, 2.0, -v5
	;; [unrolled: 1-line block ×5, first 2 shown]
	v_add_f16_e32 v5, v18, v5
	v_sub_f16_e32 v20, v3, v20
	v_fma_f16 v8, v8, 2.0, -v25
	v_add_f16_e32 v6, v19, v6
	v_sub_f16_e32 v21, v4, v21
	v_fma_f16 v34, v29, s1, v27
	v_fma_f16 v29, v29, s1, v33
	;; [unrolled: 1-line block ×3, first 2 shown]
	s_movk_i32 s3, 0x361f
	v_fma_f16 v0, v0, 2.0, -v18
	v_fma_f16 v14, v14, 2.0, -v3
	;; [unrolled: 1-line block ×8, first 2 shown]
	v_fma_f16 v30, v30, s0, v34
	v_fma_f16 v34, v8, s2, v7
	v_fma_f16 v33, v8, s3, v33
	s_mov_b32 s4, 0xb61f
	v_sub_f16_e32 v16, v0, v16
	v_sub_f16_e32 v15, v14, v15
	v_fma_f16 v11, v11, 2.0, -v28
	v_fma_f16 v26, v26, 2.0, -v13
	v_sub_f16_e32 v17, v32, v17
	v_sub_f16_e32 v2, v1, v2
	v_fma_f16 v12, v12, 2.0, -v29
	v_fma_f16 v27, v27, 2.0, -v30
	v_fma_f16 v23, v23, s4, v34
	v_fma_f16 v8, v22, 2.0, -v33
	v_fma_f16 v22, v19, s0, v18
	v_fma_f16 v34, v4, s0, v3
	v_fma_f16 v0, v0, 2.0, -v16
	v_fma_f16 v14, v14, 2.0, -v15
	;; [unrolled: 1-line block ×4, first 2 shown]
	v_fma_f16 v4, v4, s1, v22
	v_fma_f16 v19, v19, s0, v34
	;; [unrolled: 1-line block ×4, first 2 shown]
	s_movk_i32 s5, 0x3b64
	v_sub_f16_e32 v32, v0, v32
	v_sub_f16_e32 v1, v14, v1
	v_fma_f16 v22, v27, s5, v22
	v_fma_f16 v12, v12, s2, v34
	v_fma_f16 v27, v10, s3, v9
	v_fma_f16 v34, v25, s3, v24
	v_fma_f16 v0, v0, 2.0, -v32
	v_fma_f16 v14, v14, 2.0, -v1
	v_fma_f16 v25, v25, s5, v27
	v_fma_f16 v10, v10, s2, v34
	;; [unrolled: 1-line block ×4, first 2 shown]
	v_fma_f16 v7, v7, 2.0, -v23
	v_fma_f16 v18, v18, 2.0, -v4
	v_fma_f16 v3, v3, 2.0, -v19
	v_add_f16_e32 v2, v16, v2
	v_sub_f16_e32 v17, v15, v17
	v_fma_f16 v21, v21, s1, v27
	v_fma_f16 v27, v6, s0, v34
	v_pack_b32_f16 v0, v0, v14
	v_fma_f16 v11, v11, 2.0, -v22
	v_fma_f16 v26, v26, 2.0, -v12
	;; [unrolled: 1-line block ×5, first 2 shown]
	v_fma_f16 v20, v29, s5, v28
	v_fma_f16 v34, v30, s5, v13
	ds_write_b32 v50, v0
	v_pack_b32_f16 v0, v8, v7
	v_pack_b32_f16 v3, v18, v3
	v_fma_f16 v9, v9, 2.0, -v25
	v_fma_f16 v24, v24, 2.0, -v10
	;; [unrolled: 1-line block ×3, first 2 shown]
	v_fma_f16 v20, v30, s3, v20
	v_fma_f16 v29, v29, s4, v34
	ds_write2_b32 v50, v0, v3 offset0:85 offset1:170
	v_pack_b32_f16 v0, v11, v26
	v_pack_b32_f16 v3, v16, v15
	v_add_u32_e32 v8, 0x200, v50
	v_fma_f16 v28, v28, 2.0, -v20
	v_fma_f16 v13, v13, 2.0, -v29
	ds_write2_b32 v8, v0, v3 offset0:127 offset1:212
	v_pack_b32_f16 v0, v9, v24
	v_pack_b32_f16 v3, v5, v6
	v_add_u32_e32 v7, 0x400, v50
	ds_write2_b32 v7, v0, v3 offset0:169 offset1:254
	v_pack_b32_f16 v0, v28, v13
	v_pack_b32_f16 v1, v32, v1
	v_add_u32_e32 v6, 0x800, v50
	;; [unrolled: 4-line block ×5, first 2 shown]
	s_movk_i32 s19, 0x1000
	ds_write2_b32 v3, v0, v1 offset0:81 offset1:166
	v_pack_b32_f16 v0, v20, v29
	ds_write_b32 v50, v0 offset:5100
	s_waitcnt lgkmcnt(0)
	s_barrier
	s_and_b64 exec, exec, vcc
	s_cbranch_execz .LBB0_23
; %bb.22:
	global_load_dword v14, v49, s[6:7]
	v_mad_u64_u32 v[1:2], s[0:1], s10, v31, 0
	v_mad_u64_u32 v[9:10], s[0:1], s8, v183, 0
	;; [unrolled: 1-line block ×3, first 2 shown]
	ds_read_b32 v15, v50
	s_mov_b32 s14, 0x18181818
	v_mad_u64_u32 v[12:13], s[0:1], s9, v183, v[10:11]
	v_mov_b32_e32 v2, v11
	s_waitcnt lgkmcnt(0)
	v_lshrrev_b32_e32 v13, 16, v15
	v_mov_b32_e32 v10, v12
	s_mov_b32 s15, 0x3f481818
	v_lshlrev_b64 v[1:2], 2, v[1:2]
	v_mov_b32_e32 v16, s13
	v_lshlrev_b64 v[9:10], 2, v[9:10]
	v_add_co_u32_e32 v1, vcc, s12, v1
	v_addc_co_u32_e32 v2, vcc, v16, v2, vcc
	s_movk_i32 s16, 0x1ff
	v_add_co_u32_e32 v9, vcc, v1, v9
	v_addc_co_u32_e32 v10, vcc, v2, v10, vcc
	s_movk_i32 s10, 0xffe
	v_mov_b32_e32 v0, 0x7c00
	s_movk_i32 s18, 0x40f
	s_mov_b32 s17, 0x8000
	s_mul_hi_u32 s12, s8, 0x140
	s_mul_i32 s11, s8, 0x140
	s_waitcnt vmcnt(0)
	v_mul_f16_sdwa v11, v13, v14 dst_sel:DWORD dst_unused:UNUSED_PAD src0_sel:DWORD src1_sel:WORD_1
	v_fma_f16 v11, v15, v14, v11
	v_mul_f16_sdwa v12, v15, v14 dst_sel:DWORD dst_unused:UNUSED_PAD src0_sel:DWORD src1_sel:WORD_1
	v_cvt_f32_f16_e32 v11, v11
	v_fma_f16 v12, v14, v13, -v12
	v_cvt_f32_f16_e32 v13, v12
	v_cvt_f64_f32_e32 v[11:12], v11
	v_cvt_f64_f32_e32 v[13:14], v13
	v_mul_f64 v[11:12], v[11:12], s[14:15]
	v_mul_f64 v[13:14], v[13:14], s[14:15]
	v_and_or_b32 v11, v12, s16, v11
	v_cmp_ne_u32_e32 vcc, 0, v11
	v_and_or_b32 v13, v14, s16, v13
	v_lshrrev_b32_e32 v15, 8, v12
	v_bfe_u32 v16, v12, 20, 11
	v_cndmask_b32_e64 v11, 0, 1, vcc
	v_cmp_ne_u32_e32 vcc, 0, v13
	v_lshrrev_b32_e32 v17, 8, v14
	v_bfe_u32 v18, v14, 20, 11
	v_sub_u32_e32 v19, 0x3f1, v16
	v_cndmask_b32_e64 v13, 0, 1, vcc
	v_and_or_b32 v11, v15, s10, v11
	v_sub_u32_e32 v20, 0x3f1, v18
	v_med3_i32 v15, v19, 0, 13
	v_and_or_b32 v13, v17, s10, v13
	v_or_b32_e32 v19, 0x1000, v11
	v_add_u32_e32 v16, 0xfffffc10, v16
	v_med3_i32 v17, v20, 0, 13
	v_cmp_ne_u32_e32 vcc, 0, v11
	v_or_b32_e32 v21, 0x1000, v13
	v_lshrrev_b32_e32 v23, v15, v19
	v_add_u32_e32 v18, 0xfffffc10, v18
	v_lshl_or_b32 v20, v16, 12, v11
	v_cndmask_b32_e64 v11, 0, 1, vcc
	v_cmp_ne_u32_e32 vcc, 0, v13
	v_lshrrev_b32_e32 v24, v17, v21
	v_lshlrev_b32_e32 v15, v15, v23
	v_lshl_or_b32 v22, v18, 12, v13
	v_cndmask_b32_e64 v13, 0, 1, vcc
	v_lshlrev_b32_e32 v17, v17, v24
	v_cmp_ne_u32_e32 vcc, v15, v19
	v_cndmask_b32_e64 v15, 0, 1, vcc
	v_cmp_ne_u32_e32 vcc, v17, v21
	v_cndmask_b32_e64 v17, 0, 1, vcc
	v_or_b32_e32 v15, v23, v15
	v_cmp_gt_i32_e32 vcc, 1, v16
	v_cndmask_b32_e32 v15, v20, v15, vcc
	v_or_b32_e32 v17, v24, v17
	v_cmp_gt_i32_e32 vcc, 1, v18
	v_and_b32_e32 v19, 7, v15
	v_cndmask_b32_e32 v17, v22, v17, vcc
	v_cmp_lt_i32_e32 vcc, 5, v19
	v_cmp_eq_u32_e64 s[0:1], 3, v19
	v_lshrrev_b32_e32 v15, 2, v15
	v_and_b32_e32 v20, 7, v17
	s_or_b64 vcc, s[0:1], vcc
	v_cmp_lt_i32_e64 s[2:3], 5, v20
	v_cmp_eq_u32_e64 s[4:5], 3, v20
	v_addc_co_u32_e32 v15, vcc, 0, v15, vcc
	v_lshrrev_b32_e32 v17, 2, v17
	s_or_b64 vcc, s[4:5], s[2:3]
	v_addc_co_u32_e32 v17, vcc, 0, v17, vcc
	v_cmp_gt_i32_e32 vcc, 31, v16
	v_cndmask_b32_e32 v15, v0, v15, vcc
	v_cmp_gt_i32_e32 vcc, 31, v18
	v_lshl_or_b32 v11, v11, 9, v0
	v_cndmask_b32_e32 v17, v0, v17, vcc
	v_cmp_eq_u32_e32 vcc, s18, v16
	v_lshrrev_b32_e32 v12, 16, v12
	v_lshl_or_b32 v13, v13, 9, v0
	v_cndmask_b32_e32 v11, v15, v11, vcc
	v_cmp_eq_u32_e32 vcc, s18, v18
	v_lshrrev_b32_e32 v14, 16, v14
	v_cndmask_b32_e32 v13, v17, v13, vcc
	v_and_or_b32 v11, v12, s17, v11
	v_and_or_b32 v12, v14, s17, v13
	v_and_b32_e32 v11, 0xffff, v11
	v_lshl_or_b32 v11, v12, 16, v11
	global_store_dword v[9:10], v11, off
	global_load_dword v13, v49, s[6:7] offset:320
	ds_read2_b32 v[11:12], v50 offset0:80 offset1:160
	s_mul_i32 s0, s9, 0x140
	s_add_i32 s12, s12, s0
	v_add_co_u32_e32 v9, vcc, s11, v9
	s_waitcnt lgkmcnt(0)
	v_lshrrev_b32_e32 v14, 16, v11
	s_waitcnt vmcnt(0)
	v_mul_f16_sdwa v15, v14, v13 dst_sel:DWORD dst_unused:UNUSED_PAD src0_sel:DWORD src1_sel:WORD_1
	v_fma_f16 v15, v11, v13, v15
	v_mul_f16_sdwa v11, v11, v13 dst_sel:DWORD dst_unused:UNUSED_PAD src0_sel:DWORD src1_sel:WORD_1
	v_cvt_f32_f16_e32 v15, v15
	v_fma_f16 v11, v13, v14, -v11
	v_cvt_f32_f16_e32 v11, v11
	v_cvt_f64_f32_e32 v[13:14], v15
	v_cvt_f64_f32_e32 v[15:16], v11
	v_mov_b32_e32 v11, s12
	v_mul_f64 v[13:14], v[13:14], s[14:15]
	v_addc_co_u32_e32 v10, vcc, v10, v11, vcc
	v_mul_f64 v[15:16], v[15:16], s[14:15]
	v_and_or_b32 v11, v14, s16, v13
	v_cmp_ne_u32_e32 vcc, 0, v11
	v_lshrrev_b32_e32 v13, 8, v14
	v_and_or_b32 v15, v16, s16, v15
	v_bfe_u32 v17, v14, 20, 11
	v_cndmask_b32_e64 v11, 0, 1, vcc
	v_cmp_ne_u32_e32 vcc, 0, v15
	v_lshrrev_b32_e32 v18, 8, v16
	v_bfe_u32 v19, v16, 20, 11
	v_sub_u32_e32 v20, 0x3f1, v17
	v_cndmask_b32_e64 v15, 0, 1, vcc
	v_and_or_b32 v11, v13, s10, v11
	v_sub_u32_e32 v21, 0x3f1, v19
	v_med3_i32 v13, v20, 0, 13
	v_and_or_b32 v15, v18, s10, v15
	v_or_b32_e32 v20, 0x1000, v11
	v_add_u32_e32 v17, 0xfffffc10, v17
	v_med3_i32 v18, v21, 0, 13
	v_cmp_ne_u32_e32 vcc, 0, v11
	v_or_b32_e32 v22, 0x1000, v15
	v_lshrrev_b32_e32 v24, v13, v20
	v_add_u32_e32 v19, 0xfffffc10, v19
	v_lshl_or_b32 v21, v17, 12, v11
	v_cndmask_b32_e64 v11, 0, 1, vcc
	v_cmp_ne_u32_e32 vcc, 0, v15
	v_lshrrev_b32_e32 v25, v18, v22
	v_lshlrev_b32_e32 v13, v13, v24
	v_lshl_or_b32 v23, v19, 12, v15
	v_cndmask_b32_e64 v15, 0, 1, vcc
	v_lshlrev_b32_e32 v18, v18, v25
	v_cmp_ne_u32_e32 vcc, v13, v20
	v_cndmask_b32_e64 v13, 0, 1, vcc
	v_cmp_ne_u32_e32 vcc, v18, v22
	v_cndmask_b32_e64 v18, 0, 1, vcc
	v_or_b32_e32 v13, v24, v13
	v_cmp_gt_i32_e32 vcc, 1, v17
	v_cndmask_b32_e32 v13, v21, v13, vcc
	v_or_b32_e32 v18, v25, v18
	v_cmp_gt_i32_e32 vcc, 1, v19
	v_and_b32_e32 v20, 7, v13
	v_cndmask_b32_e32 v18, v23, v18, vcc
	v_cmp_lt_i32_e32 vcc, 5, v20
	v_cmp_eq_u32_e64 s[0:1], 3, v20
	v_lshrrev_b32_e32 v13, 2, v13
	v_and_b32_e32 v21, 7, v18
	s_or_b64 vcc, s[0:1], vcc
	v_cmp_lt_i32_e64 s[2:3], 5, v21
	v_cmp_eq_u32_e64 s[4:5], 3, v21
	v_addc_co_u32_e32 v13, vcc, 0, v13, vcc
	v_lshrrev_b32_e32 v18, 2, v18
	s_or_b64 vcc, s[4:5], s[2:3]
	v_addc_co_u32_e32 v18, vcc, 0, v18, vcc
	v_cmp_gt_i32_e32 vcc, 31, v17
	v_cndmask_b32_e32 v13, v0, v13, vcc
	v_cmp_gt_i32_e32 vcc, 31, v19
	v_lshl_or_b32 v11, v11, 9, v0
	v_cndmask_b32_e32 v18, v0, v18, vcc
	v_cmp_eq_u32_e32 vcc, s18, v17
	v_lshrrev_b32_e32 v14, 16, v14
	v_lshl_or_b32 v15, v15, 9, v0
	v_cndmask_b32_e32 v11, v13, v11, vcc
	v_cmp_eq_u32_e32 vcc, s18, v19
	v_lshrrev_b32_e32 v16, 16, v16
	v_cndmask_b32_e32 v13, v18, v15, vcc
	v_and_or_b32 v11, v14, s17, v11
	v_and_or_b32 v13, v16, s17, v13
	v_and_b32_e32 v11, 0xffff, v11
	v_lshl_or_b32 v11, v13, 16, v11
	global_store_dword v[9:10], v11, off
	global_load_dword v11, v49, s[6:7] offset:640
	v_lshrrev_b32_e32 v13, 16, v12
	v_mov_b32_e32 v15, s12
	v_add_co_u32_e32 v9, vcc, s11, v9
	v_addc_co_u32_e32 v10, vcc, v10, v15, vcc
	s_waitcnt vmcnt(0)
	v_mul_f16_sdwa v14, v13, v11 dst_sel:DWORD dst_unused:UNUSED_PAD src0_sel:DWORD src1_sel:WORD_1
	v_fma_f16 v14, v12, v11, v14
	v_mul_f16_sdwa v12, v12, v11 dst_sel:DWORD dst_unused:UNUSED_PAD src0_sel:DWORD src1_sel:WORD_1
	v_cvt_f32_f16_e32 v14, v14
	v_fma_f16 v11, v11, v13, -v12
	v_cvt_f32_f16_e32 v13, v11
	v_cvt_f64_f32_e32 v[11:12], v14
	v_cvt_f64_f32_e32 v[13:14], v13
	v_mul_f64 v[11:12], v[11:12], s[14:15]
	v_mul_f64 v[13:14], v[13:14], s[14:15]
	v_and_or_b32 v11, v12, s16, v11
	v_cmp_ne_u32_e32 vcc, 0, v11
	v_and_or_b32 v13, v14, s16, v13
	v_lshrrev_b32_e32 v15, 8, v12
	v_bfe_u32 v16, v12, 20, 11
	v_cndmask_b32_e64 v11, 0, 1, vcc
	v_cmp_ne_u32_e32 vcc, 0, v13
	v_lshrrev_b32_e32 v17, 8, v14
	v_bfe_u32 v18, v14, 20, 11
	v_sub_u32_e32 v19, 0x3f1, v16
	v_cndmask_b32_e64 v13, 0, 1, vcc
	v_and_or_b32 v11, v15, s10, v11
	v_sub_u32_e32 v20, 0x3f1, v18
	v_med3_i32 v15, v19, 0, 13
	v_and_or_b32 v13, v17, s10, v13
	v_or_b32_e32 v19, 0x1000, v11
	v_add_u32_e32 v16, 0xfffffc10, v16
	v_med3_i32 v17, v20, 0, 13
	v_cmp_ne_u32_e32 vcc, 0, v11
	v_or_b32_e32 v21, 0x1000, v13
	v_lshrrev_b32_e32 v23, v15, v19
	v_add_u32_e32 v18, 0xfffffc10, v18
	v_lshl_or_b32 v20, v16, 12, v11
	v_cndmask_b32_e64 v11, 0, 1, vcc
	v_cmp_ne_u32_e32 vcc, 0, v13
	v_lshrrev_b32_e32 v24, v17, v21
	v_lshlrev_b32_e32 v15, v15, v23
	v_lshl_or_b32 v22, v18, 12, v13
	v_cndmask_b32_e64 v13, 0, 1, vcc
	v_lshlrev_b32_e32 v17, v17, v24
	v_cmp_ne_u32_e32 vcc, v15, v19
	v_cndmask_b32_e64 v15, 0, 1, vcc
	v_cmp_ne_u32_e32 vcc, v17, v21
	v_cndmask_b32_e64 v17, 0, 1, vcc
	v_or_b32_e32 v15, v23, v15
	v_cmp_gt_i32_e32 vcc, 1, v16
	v_cndmask_b32_e32 v15, v20, v15, vcc
	v_or_b32_e32 v17, v24, v17
	v_cmp_gt_i32_e32 vcc, 1, v18
	v_and_b32_e32 v19, 7, v15
	v_cndmask_b32_e32 v17, v22, v17, vcc
	v_cmp_lt_i32_e32 vcc, 5, v19
	v_cmp_eq_u32_e64 s[0:1], 3, v19
	v_lshrrev_b32_e32 v15, 2, v15
	v_and_b32_e32 v20, 7, v17
	s_or_b64 vcc, s[0:1], vcc
	v_cmp_lt_i32_e64 s[2:3], 5, v20
	v_cmp_eq_u32_e64 s[4:5], 3, v20
	v_addc_co_u32_e32 v15, vcc, 0, v15, vcc
	v_lshrrev_b32_e32 v17, 2, v17
	s_or_b64 vcc, s[4:5], s[2:3]
	v_addc_co_u32_e32 v17, vcc, 0, v17, vcc
	v_cmp_gt_i32_e32 vcc, 31, v16
	v_cndmask_b32_e32 v15, v0, v15, vcc
	v_cmp_gt_i32_e32 vcc, 31, v18
	v_lshl_or_b32 v11, v11, 9, v0
	v_cndmask_b32_e32 v17, v0, v17, vcc
	v_cmp_eq_u32_e32 vcc, s18, v16
	v_lshrrev_b32_e32 v12, 16, v12
	v_lshl_or_b32 v13, v13, 9, v0
	v_cndmask_b32_e32 v11, v15, v11, vcc
	v_cmp_eq_u32_e32 vcc, s18, v18
	v_lshrrev_b32_e32 v14, 16, v14
	v_cndmask_b32_e32 v13, v17, v13, vcc
	v_and_or_b32 v11, v12, s17, v11
	v_and_or_b32 v12, v14, s17, v13
	v_and_b32_e32 v11, 0xffff, v11
	v_lshl_or_b32 v11, v12, 16, v11
	global_store_dword v[9:10], v11, off
	global_load_dword v13, v49, s[6:7] offset:960
	ds_read2_b32 v[11:12], v8 offset0:112 offset1:192
	s_waitcnt lgkmcnt(0)
	v_lshrrev_b32_e32 v8, 16, v11
	s_waitcnt vmcnt(0)
	v_mul_f16_sdwa v14, v8, v13 dst_sel:DWORD dst_unused:UNUSED_PAD src0_sel:DWORD src1_sel:WORD_1
	v_fma_f16 v14, v11, v13, v14
	v_mul_f16_sdwa v11, v11, v13 dst_sel:DWORD dst_unused:UNUSED_PAD src0_sel:DWORD src1_sel:WORD_1
	v_cvt_f32_f16_e32 v14, v14
	v_fma_f16 v8, v13, v8, -v11
	v_cvt_f32_f16_e32 v8, v8
	v_mov_b32_e32 v11, s12
	v_cvt_f64_f32_e32 v[13:14], v14
	v_cvt_f64_f32_e32 v[15:16], v8
	v_add_co_u32_e32 v8, vcc, s11, v9
	v_mul_f64 v[13:14], v[13:14], s[14:15]
	v_mul_f64 v[15:16], v[15:16], s[14:15]
	v_addc_co_u32_e32 v9, vcc, v10, v11, vcc
	v_and_or_b32 v10, v14, s16, v13
	v_and_or_b32 v15, v16, s16, v15
	v_cmp_ne_u32_e32 vcc, 0, v10
	v_lshrrev_b32_e32 v11, 8, v14
	v_bfe_u32 v13, v14, 20, 11
	v_cndmask_b32_e64 v10, 0, 1, vcc
	v_cmp_ne_u32_e32 vcc, 0, v15
	v_lshrrev_b32_e32 v17, 8, v16
	v_bfe_u32 v18, v16, 20, 11
	v_sub_u32_e32 v19, 0x3f1, v13
	v_cndmask_b32_e64 v15, 0, 1, vcc
	v_and_or_b32 v10, v11, s10, v10
	v_sub_u32_e32 v20, 0x3f1, v18
	v_med3_i32 v11, v19, 0, 13
	v_and_or_b32 v15, v17, s10, v15
	v_or_b32_e32 v19, 0x1000, v10
	v_add_u32_e32 v13, 0xfffffc10, v13
	v_med3_i32 v17, v20, 0, 13
	v_cmp_ne_u32_e32 vcc, 0, v10
	v_or_b32_e32 v21, 0x1000, v15
	v_lshrrev_b32_e32 v23, v11, v19
	v_add_u32_e32 v18, 0xfffffc10, v18
	v_lshl_or_b32 v20, v13, 12, v10
	v_cndmask_b32_e64 v10, 0, 1, vcc
	v_cmp_ne_u32_e32 vcc, 0, v15
	v_lshrrev_b32_e32 v24, v17, v21
	v_lshlrev_b32_e32 v11, v11, v23
	v_lshl_or_b32 v22, v18, 12, v15
	v_cndmask_b32_e64 v15, 0, 1, vcc
	v_lshlrev_b32_e32 v17, v17, v24
	v_cmp_ne_u32_e32 vcc, v11, v19
	v_cndmask_b32_e64 v11, 0, 1, vcc
	v_cmp_ne_u32_e32 vcc, v17, v21
	v_cndmask_b32_e64 v17, 0, 1, vcc
	v_or_b32_e32 v11, v23, v11
	v_cmp_gt_i32_e32 vcc, 1, v13
	v_cndmask_b32_e32 v11, v20, v11, vcc
	v_or_b32_e32 v17, v24, v17
	v_cmp_gt_i32_e32 vcc, 1, v18
	v_and_b32_e32 v19, 7, v11
	v_cndmask_b32_e32 v17, v22, v17, vcc
	v_cmp_lt_i32_e32 vcc, 5, v19
	v_cmp_eq_u32_e64 s[0:1], 3, v19
	v_lshrrev_b32_e32 v11, 2, v11
	v_and_b32_e32 v20, 7, v17
	s_or_b64 vcc, s[0:1], vcc
	v_cmp_lt_i32_e64 s[2:3], 5, v20
	v_cmp_eq_u32_e64 s[4:5], 3, v20
	v_addc_co_u32_e32 v11, vcc, 0, v11, vcc
	v_lshrrev_b32_e32 v17, 2, v17
	s_or_b64 vcc, s[4:5], s[2:3]
	v_addc_co_u32_e32 v17, vcc, 0, v17, vcc
	v_cmp_gt_i32_e32 vcc, 31, v13
	v_cndmask_b32_e32 v11, v0, v11, vcc
	v_cmp_gt_i32_e32 vcc, 31, v18
	v_lshl_or_b32 v10, v10, 9, v0
	v_cndmask_b32_e32 v17, v0, v17, vcc
	v_cmp_eq_u32_e32 vcc, s18, v13
	v_lshrrev_b32_e32 v14, 16, v14
	v_lshl_or_b32 v15, v15, 9, v0
	v_cndmask_b32_e32 v10, v11, v10, vcc
	v_cmp_eq_u32_e32 vcc, s18, v18
	v_lshrrev_b32_e32 v16, 16, v16
	v_cndmask_b32_e32 v11, v17, v15, vcc
	v_and_or_b32 v10, v14, s17, v10
	v_and_or_b32 v11, v16, s17, v11
	v_and_b32_e32 v10, 0xffff, v10
	v_lshl_or_b32 v10, v11, 16, v10
	global_store_dword v[8:9], v10, off
	global_load_dword v10, v49, s[6:7] offset:1280
	v_lshrrev_b32_e32 v11, 16, v12
	v_mov_b32_e32 v14, s12
	v_add_co_u32_e32 v8, vcc, s11, v8
	v_addc_co_u32_e32 v9, vcc, v9, v14, vcc
	s_waitcnt vmcnt(0)
	v_mul_f16_sdwa v13, v11, v10 dst_sel:DWORD dst_unused:UNUSED_PAD src0_sel:DWORD src1_sel:WORD_1
	v_fma_f16 v13, v12, v10, v13
	v_mul_f16_sdwa v12, v12, v10 dst_sel:DWORD dst_unused:UNUSED_PAD src0_sel:DWORD src1_sel:WORD_1
	v_cvt_f32_f16_e32 v13, v13
	v_fma_f16 v10, v10, v11, -v12
	v_cvt_f32_f16_e32 v12, v10
	v_cvt_f64_f32_e32 v[10:11], v13
	v_cvt_f64_f32_e32 v[12:13], v12
	v_mul_f64 v[10:11], v[10:11], s[14:15]
	v_mul_f64 v[12:13], v[12:13], s[14:15]
	v_and_or_b32 v10, v11, s16, v10
	v_cmp_ne_u32_e32 vcc, 0, v10
	v_and_or_b32 v12, v13, s16, v12
	v_lshrrev_b32_e32 v14, 8, v11
	v_bfe_u32 v15, v11, 20, 11
	v_cndmask_b32_e64 v10, 0, 1, vcc
	v_cmp_ne_u32_e32 vcc, 0, v12
	v_lshrrev_b32_e32 v16, 8, v13
	v_bfe_u32 v17, v13, 20, 11
	v_sub_u32_e32 v18, 0x3f1, v15
	v_cndmask_b32_e64 v12, 0, 1, vcc
	v_and_or_b32 v10, v14, s10, v10
	v_sub_u32_e32 v19, 0x3f1, v17
	v_med3_i32 v14, v18, 0, 13
	v_and_or_b32 v12, v16, s10, v12
	v_or_b32_e32 v18, 0x1000, v10
	v_add_u32_e32 v15, 0xfffffc10, v15
	v_med3_i32 v16, v19, 0, 13
	v_cmp_ne_u32_e32 vcc, 0, v10
	v_or_b32_e32 v20, 0x1000, v12
	v_lshrrev_b32_e32 v22, v14, v18
	v_add_u32_e32 v17, 0xfffffc10, v17
	v_lshl_or_b32 v19, v15, 12, v10
	v_cndmask_b32_e64 v10, 0, 1, vcc
	v_cmp_ne_u32_e32 vcc, 0, v12
	v_lshrrev_b32_e32 v23, v16, v20
	v_lshlrev_b32_e32 v14, v14, v22
	v_lshl_or_b32 v21, v17, 12, v12
	v_cndmask_b32_e64 v12, 0, 1, vcc
	v_lshlrev_b32_e32 v16, v16, v23
	v_cmp_ne_u32_e32 vcc, v14, v18
	v_cndmask_b32_e64 v14, 0, 1, vcc
	v_cmp_ne_u32_e32 vcc, v16, v20
	v_cndmask_b32_e64 v16, 0, 1, vcc
	v_or_b32_e32 v14, v22, v14
	v_cmp_gt_i32_e32 vcc, 1, v15
	v_cndmask_b32_e32 v14, v19, v14, vcc
	v_or_b32_e32 v16, v23, v16
	v_cmp_gt_i32_e32 vcc, 1, v17
	v_and_b32_e32 v18, 7, v14
	v_cndmask_b32_e32 v16, v21, v16, vcc
	v_cmp_lt_i32_e32 vcc, 5, v18
	v_cmp_eq_u32_e64 s[0:1], 3, v18
	v_lshrrev_b32_e32 v14, 2, v14
	v_and_b32_e32 v19, 7, v16
	s_or_b64 vcc, s[0:1], vcc
	v_cmp_lt_i32_e64 s[2:3], 5, v19
	v_cmp_eq_u32_e64 s[4:5], 3, v19
	v_addc_co_u32_e32 v14, vcc, 0, v14, vcc
	v_lshrrev_b32_e32 v16, 2, v16
	s_or_b64 vcc, s[4:5], s[2:3]
	v_addc_co_u32_e32 v16, vcc, 0, v16, vcc
	v_cmp_gt_i32_e32 vcc, 31, v15
	v_cndmask_b32_e32 v14, v0, v14, vcc
	v_cmp_gt_i32_e32 vcc, 31, v17
	v_lshl_or_b32 v10, v10, 9, v0
	v_cndmask_b32_e32 v16, v0, v16, vcc
	v_cmp_eq_u32_e32 vcc, s18, v15
	v_lshrrev_b32_e32 v11, 16, v11
	v_lshl_or_b32 v12, v12, 9, v0
	v_cndmask_b32_e32 v10, v14, v10, vcc
	v_cmp_eq_u32_e32 vcc, s18, v17
	v_lshrrev_b32_e32 v13, 16, v13
	v_cndmask_b32_e32 v12, v16, v12, vcc
	v_and_or_b32 v10, v11, s17, v10
	v_and_or_b32 v11, v13, s17, v12
	v_and_b32_e32 v10, 0xffff, v10
	v_lshl_or_b32 v10, v11, 16, v10
	global_store_dword v[8:9], v10, off
	global_load_dword v12, v49, s[6:7] offset:1600
	ds_read2_b32 v[10:11], v7 offset0:144 offset1:224
	s_waitcnt lgkmcnt(0)
	v_lshrrev_b32_e32 v7, 16, v10
	s_waitcnt vmcnt(0)
	v_mul_f16_sdwa v13, v7, v12 dst_sel:DWORD dst_unused:UNUSED_PAD src0_sel:DWORD src1_sel:WORD_1
	v_fma_f16 v13, v10, v12, v13
	v_mul_f16_sdwa v10, v10, v12 dst_sel:DWORD dst_unused:UNUSED_PAD src0_sel:DWORD src1_sel:WORD_1
	v_cvt_f32_f16_e32 v13, v13
	v_fma_f16 v7, v12, v7, -v10
	v_cvt_f32_f16_e32 v7, v7
	v_mov_b32_e32 v10, s12
	v_cvt_f64_f32_e32 v[12:13], v13
	v_cvt_f64_f32_e32 v[14:15], v7
	v_add_co_u32_e32 v7, vcc, s11, v8
	v_mul_f64 v[12:13], v[12:13], s[14:15]
	v_mul_f64 v[14:15], v[14:15], s[14:15]
	v_addc_co_u32_e32 v8, vcc, v9, v10, vcc
	v_and_or_b32 v9, v13, s16, v12
	v_and_or_b32 v14, v15, s16, v14
	v_cmp_ne_u32_e32 vcc, 0, v9
	v_lshrrev_b32_e32 v10, 8, v13
	v_bfe_u32 v12, v13, 20, 11
	v_cndmask_b32_e64 v9, 0, 1, vcc
	v_cmp_ne_u32_e32 vcc, 0, v14
	v_lshrrev_b32_e32 v16, 8, v15
	v_bfe_u32 v17, v15, 20, 11
	v_sub_u32_e32 v18, 0x3f1, v12
	v_cndmask_b32_e64 v14, 0, 1, vcc
	v_and_or_b32 v9, v10, s10, v9
	v_sub_u32_e32 v19, 0x3f1, v17
	v_med3_i32 v10, v18, 0, 13
	v_and_or_b32 v14, v16, s10, v14
	v_or_b32_e32 v18, 0x1000, v9
	v_add_u32_e32 v12, 0xfffffc10, v12
	v_med3_i32 v16, v19, 0, 13
	v_cmp_ne_u32_e32 vcc, 0, v9
	v_or_b32_e32 v20, 0x1000, v14
	v_lshrrev_b32_e32 v22, v10, v18
	v_add_u32_e32 v17, 0xfffffc10, v17
	v_lshl_or_b32 v19, v12, 12, v9
	v_cndmask_b32_e64 v9, 0, 1, vcc
	v_cmp_ne_u32_e32 vcc, 0, v14
	v_lshrrev_b32_e32 v23, v16, v20
	v_lshlrev_b32_e32 v10, v10, v22
	v_lshl_or_b32 v21, v17, 12, v14
	v_cndmask_b32_e64 v14, 0, 1, vcc
	v_lshlrev_b32_e32 v16, v16, v23
	v_cmp_ne_u32_e32 vcc, v10, v18
	v_cndmask_b32_e64 v10, 0, 1, vcc
	v_cmp_ne_u32_e32 vcc, v16, v20
	v_cndmask_b32_e64 v16, 0, 1, vcc
	v_or_b32_e32 v10, v22, v10
	v_cmp_gt_i32_e32 vcc, 1, v12
	v_cndmask_b32_e32 v10, v19, v10, vcc
	v_or_b32_e32 v16, v23, v16
	v_cmp_gt_i32_e32 vcc, 1, v17
	v_and_b32_e32 v18, 7, v10
	v_cndmask_b32_e32 v16, v21, v16, vcc
	v_cmp_lt_i32_e32 vcc, 5, v18
	v_cmp_eq_u32_e64 s[0:1], 3, v18
	v_lshrrev_b32_e32 v10, 2, v10
	v_and_b32_e32 v19, 7, v16
	s_or_b64 vcc, s[0:1], vcc
	v_cmp_lt_i32_e64 s[2:3], 5, v19
	v_cmp_eq_u32_e64 s[4:5], 3, v19
	v_addc_co_u32_e32 v10, vcc, 0, v10, vcc
	v_lshrrev_b32_e32 v16, 2, v16
	s_or_b64 vcc, s[4:5], s[2:3]
	v_addc_co_u32_e32 v16, vcc, 0, v16, vcc
	v_cmp_gt_i32_e32 vcc, 31, v12
	v_cndmask_b32_e32 v10, v0, v10, vcc
	v_cmp_gt_i32_e32 vcc, 31, v17
	v_lshl_or_b32 v9, v9, 9, v0
	v_cndmask_b32_e32 v16, v0, v16, vcc
	v_cmp_eq_u32_e32 vcc, s18, v12
	v_lshrrev_b32_e32 v13, 16, v13
	v_lshl_or_b32 v14, v14, 9, v0
	v_cndmask_b32_e32 v9, v10, v9, vcc
	v_cmp_eq_u32_e32 vcc, s18, v17
	v_lshrrev_b32_e32 v15, 16, v15
	v_cndmask_b32_e32 v10, v16, v14, vcc
	v_and_or_b32 v9, v13, s17, v9
	v_and_or_b32 v10, v15, s17, v10
	v_and_b32_e32 v9, 0xffff, v9
	v_lshl_or_b32 v9, v10, 16, v9
	global_store_dword v[7:8], v9, off
	global_load_dword v9, v49, s[6:7] offset:1920
	v_lshrrev_b32_e32 v10, 16, v11
	v_mov_b32_e32 v13, s12
	v_add_co_u32_e32 v7, vcc, s11, v7
	v_addc_co_u32_e32 v8, vcc, v8, v13, vcc
	s_waitcnt vmcnt(0)
	v_mul_f16_sdwa v12, v10, v9 dst_sel:DWORD dst_unused:UNUSED_PAD src0_sel:DWORD src1_sel:WORD_1
	v_fma_f16 v12, v11, v9, v12
	v_mul_f16_sdwa v11, v11, v9 dst_sel:DWORD dst_unused:UNUSED_PAD src0_sel:DWORD src1_sel:WORD_1
	v_cvt_f32_f16_e32 v12, v12
	v_fma_f16 v9, v9, v10, -v11
	v_cvt_f32_f16_e32 v11, v9
	v_cvt_f64_f32_e32 v[9:10], v12
	v_cvt_f64_f32_e32 v[11:12], v11
	v_mul_f64 v[9:10], v[9:10], s[14:15]
	v_mul_f64 v[11:12], v[11:12], s[14:15]
	v_and_or_b32 v9, v10, s16, v9
	v_cmp_ne_u32_e32 vcc, 0, v9
	v_and_or_b32 v11, v12, s16, v11
	v_lshrrev_b32_e32 v13, 8, v10
	v_bfe_u32 v14, v10, 20, 11
	v_cndmask_b32_e64 v9, 0, 1, vcc
	v_cmp_ne_u32_e32 vcc, 0, v11
	v_lshrrev_b32_e32 v15, 8, v12
	v_bfe_u32 v16, v12, 20, 11
	v_sub_u32_e32 v17, 0x3f1, v14
	v_cndmask_b32_e64 v11, 0, 1, vcc
	v_and_or_b32 v9, v13, s10, v9
	v_sub_u32_e32 v18, 0x3f1, v16
	v_med3_i32 v13, v17, 0, 13
	v_and_or_b32 v11, v15, s10, v11
	v_or_b32_e32 v17, 0x1000, v9
	v_add_u32_e32 v14, 0xfffffc10, v14
	v_med3_i32 v15, v18, 0, 13
	v_cmp_ne_u32_e32 vcc, 0, v9
	v_or_b32_e32 v19, 0x1000, v11
	v_lshrrev_b32_e32 v21, v13, v17
	v_add_u32_e32 v16, 0xfffffc10, v16
	v_lshl_or_b32 v18, v14, 12, v9
	v_cndmask_b32_e64 v9, 0, 1, vcc
	v_cmp_ne_u32_e32 vcc, 0, v11
	v_lshrrev_b32_e32 v22, v15, v19
	v_lshlrev_b32_e32 v13, v13, v21
	v_lshl_or_b32 v20, v16, 12, v11
	v_cndmask_b32_e64 v11, 0, 1, vcc
	v_lshlrev_b32_e32 v15, v15, v22
	v_cmp_ne_u32_e32 vcc, v13, v17
	v_cndmask_b32_e64 v13, 0, 1, vcc
	v_cmp_ne_u32_e32 vcc, v15, v19
	v_cndmask_b32_e64 v15, 0, 1, vcc
	v_or_b32_e32 v13, v21, v13
	v_cmp_gt_i32_e32 vcc, 1, v14
	v_cndmask_b32_e32 v13, v18, v13, vcc
	v_or_b32_e32 v15, v22, v15
	v_cmp_gt_i32_e32 vcc, 1, v16
	v_and_b32_e32 v17, 7, v13
	v_cndmask_b32_e32 v15, v20, v15, vcc
	v_cmp_lt_i32_e32 vcc, 5, v17
	v_cmp_eq_u32_e64 s[0:1], 3, v17
	v_lshrrev_b32_e32 v13, 2, v13
	v_and_b32_e32 v18, 7, v15
	s_or_b64 vcc, s[0:1], vcc
	v_cmp_lt_i32_e64 s[2:3], 5, v18
	v_cmp_eq_u32_e64 s[4:5], 3, v18
	v_addc_co_u32_e32 v13, vcc, 0, v13, vcc
	v_lshrrev_b32_e32 v15, 2, v15
	s_or_b64 vcc, s[4:5], s[2:3]
	v_addc_co_u32_e32 v15, vcc, 0, v15, vcc
	v_cmp_gt_i32_e32 vcc, 31, v14
	v_cndmask_b32_e32 v13, v0, v13, vcc
	v_cmp_gt_i32_e32 vcc, 31, v16
	v_lshl_or_b32 v9, v9, 9, v0
	v_cndmask_b32_e32 v15, v0, v15, vcc
	v_cmp_eq_u32_e32 vcc, s18, v14
	v_lshrrev_b32_e32 v10, 16, v10
	v_lshl_or_b32 v11, v11, 9, v0
	v_cndmask_b32_e32 v9, v13, v9, vcc
	v_cmp_eq_u32_e32 vcc, s18, v16
	v_lshrrev_b32_e32 v12, 16, v12
	v_cndmask_b32_e32 v11, v15, v11, vcc
	v_and_or_b32 v9, v10, s17, v9
	v_and_or_b32 v10, v12, s17, v11
	v_and_b32_e32 v9, 0xffff, v9
	v_lshl_or_b32 v9, v10, 16, v9
	global_store_dword v[7:8], v9, off
	global_load_dword v11, v49, s[6:7] offset:2240
	ds_read2_b32 v[9:10], v6 offset0:48 offset1:128
	s_waitcnt lgkmcnt(0)
	v_lshrrev_b32_e32 v6, 16, v9
	s_waitcnt vmcnt(0)
	v_mul_f16_sdwa v12, v6, v11 dst_sel:DWORD dst_unused:UNUSED_PAD src0_sel:DWORD src1_sel:WORD_1
	v_fma_f16 v12, v9, v11, v12
	v_mul_f16_sdwa v9, v9, v11 dst_sel:DWORD dst_unused:UNUSED_PAD src0_sel:DWORD src1_sel:WORD_1
	v_cvt_f32_f16_e32 v12, v12
	v_fma_f16 v6, v11, v6, -v9
	v_cvt_f32_f16_e32 v6, v6
	v_mov_b32_e32 v9, s12
	v_cvt_f64_f32_e32 v[11:12], v12
	v_cvt_f64_f32_e32 v[13:14], v6
	v_add_co_u32_e32 v6, vcc, s11, v7
	v_mul_f64 v[11:12], v[11:12], s[14:15]
	v_mul_f64 v[13:14], v[13:14], s[14:15]
	v_addc_co_u32_e32 v7, vcc, v8, v9, vcc
	v_and_or_b32 v8, v12, s16, v11
	v_and_or_b32 v13, v14, s16, v13
	v_cmp_ne_u32_e32 vcc, 0, v8
	v_lshrrev_b32_e32 v9, 8, v12
	v_bfe_u32 v11, v12, 20, 11
	v_cndmask_b32_e64 v8, 0, 1, vcc
	v_cmp_ne_u32_e32 vcc, 0, v13
	v_lshrrev_b32_e32 v15, 8, v14
	v_bfe_u32 v16, v14, 20, 11
	v_sub_u32_e32 v17, 0x3f1, v11
	v_cndmask_b32_e64 v13, 0, 1, vcc
	v_and_or_b32 v8, v9, s10, v8
	v_sub_u32_e32 v18, 0x3f1, v16
	v_med3_i32 v9, v17, 0, 13
	v_and_or_b32 v13, v15, s10, v13
	v_or_b32_e32 v17, 0x1000, v8
	v_add_u32_e32 v11, 0xfffffc10, v11
	v_med3_i32 v15, v18, 0, 13
	v_cmp_ne_u32_e32 vcc, 0, v8
	v_or_b32_e32 v19, 0x1000, v13
	v_lshrrev_b32_e32 v21, v9, v17
	v_add_u32_e32 v16, 0xfffffc10, v16
	v_lshl_or_b32 v18, v11, 12, v8
	v_cndmask_b32_e64 v8, 0, 1, vcc
	v_cmp_ne_u32_e32 vcc, 0, v13
	v_lshrrev_b32_e32 v22, v15, v19
	v_lshlrev_b32_e32 v9, v9, v21
	v_lshl_or_b32 v20, v16, 12, v13
	v_cndmask_b32_e64 v13, 0, 1, vcc
	v_lshlrev_b32_e32 v15, v15, v22
	v_cmp_ne_u32_e32 vcc, v9, v17
	v_cndmask_b32_e64 v9, 0, 1, vcc
	v_cmp_ne_u32_e32 vcc, v15, v19
	v_cndmask_b32_e64 v15, 0, 1, vcc
	v_or_b32_e32 v9, v21, v9
	v_cmp_gt_i32_e32 vcc, 1, v11
	v_cndmask_b32_e32 v9, v18, v9, vcc
	v_or_b32_e32 v15, v22, v15
	v_cmp_gt_i32_e32 vcc, 1, v16
	v_and_b32_e32 v17, 7, v9
	v_cndmask_b32_e32 v15, v20, v15, vcc
	v_cmp_lt_i32_e32 vcc, 5, v17
	v_cmp_eq_u32_e64 s[0:1], 3, v17
	v_lshrrev_b32_e32 v9, 2, v9
	v_and_b32_e32 v18, 7, v15
	s_or_b64 vcc, s[0:1], vcc
	v_cmp_lt_i32_e64 s[2:3], 5, v18
	v_cmp_eq_u32_e64 s[4:5], 3, v18
	v_addc_co_u32_e32 v9, vcc, 0, v9, vcc
	v_lshrrev_b32_e32 v15, 2, v15
	s_or_b64 vcc, s[4:5], s[2:3]
	v_addc_co_u32_e32 v15, vcc, 0, v15, vcc
	v_cmp_gt_i32_e32 vcc, 31, v11
	v_cndmask_b32_e32 v9, v0, v9, vcc
	v_cmp_gt_i32_e32 vcc, 31, v16
	v_lshl_or_b32 v8, v8, 9, v0
	v_cndmask_b32_e32 v15, v0, v15, vcc
	v_cmp_eq_u32_e32 vcc, s18, v11
	v_lshrrev_b32_e32 v12, 16, v12
	v_lshl_or_b32 v13, v13, 9, v0
	v_cndmask_b32_e32 v8, v9, v8, vcc
	v_cmp_eq_u32_e32 vcc, s18, v16
	v_lshrrev_b32_e32 v14, 16, v14
	v_cndmask_b32_e32 v9, v15, v13, vcc
	v_and_or_b32 v8, v12, s17, v8
	v_and_or_b32 v9, v14, s17, v9
	v_and_b32_e32 v8, 0xffff, v8
	v_lshl_or_b32 v8, v9, 16, v8
	global_store_dword v[6:7], v8, off
	global_load_dword v11, v49, s[6:7] offset:2560
	v_lshrrev_b32_e32 v13, 16, v10
	v_or_b32_e32 v12, 0x280, v183
	v_mad_u64_u32 v[8:9], s[0:1], s8, v12, 0
	s_waitcnt vmcnt(0)
	v_mul_f16_sdwa v14, v13, v11 dst_sel:DWORD dst_unused:UNUSED_PAD src0_sel:DWORD src1_sel:WORD_1
	v_fma_f16 v14, v10, v11, v14
	v_cvt_f32_f16_e32 v14, v14
	v_mul_f16_sdwa v10, v10, v11 dst_sel:DWORD dst_unused:UNUSED_PAD src0_sel:DWORD src1_sel:WORD_1
	v_fma_f16 v10, v11, v13, -v10
	v_cvt_f32_f16_e32 v15, v10
	v_cvt_f64_f32_e32 v[10:11], v14
	v_mad_u64_u32 v[12:13], s[0:1], s9, v12, v[9:10]
	v_cvt_f64_f32_e32 v[13:14], v15
	v_mul_f64 v[10:11], v[10:11], s[14:15]
	v_mov_b32_e32 v9, v12
	v_lshlrev_b64 v[8:9], 2, v[8:9]
	v_mul_f64 v[12:13], v[13:14], s[14:15]
	v_add_co_u32_e32 v8, vcc, v1, v8
	v_addc_co_u32_e32 v9, vcc, v2, v9, vcc
	v_and_or_b32 v10, v11, s16, v10
	v_cmp_ne_u32_e32 vcc, 0, v10
	v_lshrrev_b32_e32 v14, 8, v11
	v_and_or_b32 v12, v13, s16, v12
	v_bfe_u32 v15, v11, 20, 11
	v_cndmask_b32_e64 v10, 0, 1, vcc
	v_cmp_ne_u32_e32 vcc, 0, v12
	v_lshrrev_b32_e32 v16, 8, v13
	v_bfe_u32 v17, v13, 20, 11
	v_sub_u32_e32 v18, 0x3f1, v15
	v_cndmask_b32_e64 v12, 0, 1, vcc
	v_and_or_b32 v10, v14, s10, v10
	v_sub_u32_e32 v19, 0x3f1, v17
	v_med3_i32 v14, v18, 0, 13
	v_and_or_b32 v12, v16, s10, v12
	v_or_b32_e32 v18, 0x1000, v10
	v_add_u32_e32 v15, 0xfffffc10, v15
	v_med3_i32 v16, v19, 0, 13
	v_cmp_ne_u32_e32 vcc, 0, v10
	v_or_b32_e32 v20, 0x1000, v12
	v_lshrrev_b32_e32 v22, v14, v18
	v_add_u32_e32 v17, 0xfffffc10, v17
	v_lshl_or_b32 v19, v15, 12, v10
	v_cndmask_b32_e64 v10, 0, 1, vcc
	v_cmp_ne_u32_e32 vcc, 0, v12
	v_lshrrev_b32_e32 v23, v16, v20
	v_lshlrev_b32_e32 v14, v14, v22
	v_lshl_or_b32 v21, v17, 12, v12
	v_cndmask_b32_e64 v12, 0, 1, vcc
	v_lshlrev_b32_e32 v16, v16, v23
	v_cmp_ne_u32_e32 vcc, v14, v18
	v_cndmask_b32_e64 v14, 0, 1, vcc
	v_cmp_ne_u32_e32 vcc, v16, v20
	v_cndmask_b32_e64 v16, 0, 1, vcc
	v_or_b32_e32 v14, v22, v14
	v_cmp_gt_i32_e32 vcc, 1, v15
	v_cndmask_b32_e32 v14, v19, v14, vcc
	v_or_b32_e32 v16, v23, v16
	v_cmp_gt_i32_e32 vcc, 1, v17
	v_and_b32_e32 v18, 7, v14
	v_cndmask_b32_e32 v16, v21, v16, vcc
	v_cmp_lt_i32_e32 vcc, 5, v18
	v_cmp_eq_u32_e64 s[0:1], 3, v18
	v_lshrrev_b32_e32 v14, 2, v14
	v_and_b32_e32 v19, 7, v16
	s_or_b64 vcc, s[0:1], vcc
	v_cmp_lt_i32_e64 s[2:3], 5, v19
	v_cmp_eq_u32_e64 s[4:5], 3, v19
	v_addc_co_u32_e32 v14, vcc, 0, v14, vcc
	v_lshrrev_b32_e32 v16, 2, v16
	s_or_b64 vcc, s[4:5], s[2:3]
	v_addc_co_u32_e32 v16, vcc, 0, v16, vcc
	v_cmp_gt_i32_e32 vcc, 31, v15
	v_cndmask_b32_e32 v14, v0, v14, vcc
	v_cmp_gt_i32_e32 vcc, 31, v17
	v_lshl_or_b32 v10, v10, 9, v0
	v_cndmask_b32_e32 v16, v0, v16, vcc
	v_cmp_eq_u32_e32 vcc, s18, v15
	v_lshrrev_b32_e32 v11, 16, v11
	v_lshl_or_b32 v12, v12, 9, v0
	v_cndmask_b32_e32 v10, v14, v10, vcc
	v_cmp_eq_u32_e32 vcc, s18, v17
	v_lshrrev_b32_e32 v13, 16, v13
	v_cndmask_b32_e32 v12, v16, v12, vcc
	v_and_or_b32 v10, v11, s17, v10
	v_and_or_b32 v11, v13, s17, v12
	v_and_b32_e32 v10, 0xffff, v10
	v_lshl_or_b32 v10, v11, 16, v10
	global_store_dword v[8:9], v10, off
	global_load_dword v10, v49, s[6:7] offset:2880
	ds_read2_b32 v[8:9], v5 offset0:80 offset1:160
	s_waitcnt lgkmcnt(0)
	v_lshrrev_b32_e32 v5, 16, v8
	s_waitcnt vmcnt(0)
	v_mul_f16_sdwa v11, v5, v10 dst_sel:DWORD dst_unused:UNUSED_PAD src0_sel:DWORD src1_sel:WORD_1
	v_fma_f16 v11, v8, v10, v11
	v_mul_f16_sdwa v8, v8, v10 dst_sel:DWORD dst_unused:UNUSED_PAD src0_sel:DWORD src1_sel:WORD_1
	v_cvt_f32_f16_e32 v11, v11
	v_fma_f16 v5, v10, v5, -v8
	v_cvt_f32_f16_e32 v5, v5
	v_cvt_f64_f32_e32 v[10:11], v11
	v_cvt_f64_f32_e32 v[12:13], v5
	v_mov_b32_e32 v5, 0x280
	v_mul_f64 v[10:11], v[10:11], s[14:15]
	v_mad_u64_u32 v[5:6], s[0:1], s8, v5, v[6:7]
	v_mul_f64 v[7:8], v[12:13], s[14:15]
	s_mul_i32 s0, s9, 0x280
	v_add_u32_e32 v6, s0, v6
	v_and_or_b32 v10, v11, s16, v10
	v_cmp_ne_u32_e32 vcc, 0, v10
	v_lshrrev_b32_e32 v12, 8, v11
	v_and_or_b32 v7, v8, s16, v7
	v_bfe_u32 v13, v11, 20, 11
	v_cndmask_b32_e64 v10, 0, 1, vcc
	v_cmp_ne_u32_e32 vcc, 0, v7
	v_lshrrev_b32_e32 v14, 8, v8
	v_bfe_u32 v15, v8, 20, 11
	v_sub_u32_e32 v16, 0x3f1, v13
	v_cndmask_b32_e64 v7, 0, 1, vcc
	v_and_or_b32 v10, v12, s10, v10
	v_sub_u32_e32 v17, 0x3f1, v15
	v_med3_i32 v12, v16, 0, 13
	v_and_or_b32 v7, v14, s10, v7
	v_or_b32_e32 v16, 0x1000, v10
	v_add_u32_e32 v13, 0xfffffc10, v13
	v_med3_i32 v14, v17, 0, 13
	v_cmp_ne_u32_e32 vcc, 0, v10
	v_or_b32_e32 v18, 0x1000, v7
	v_lshrrev_b32_e32 v20, v12, v16
	v_add_u32_e32 v15, 0xfffffc10, v15
	v_lshl_or_b32 v17, v13, 12, v10
	v_cndmask_b32_e64 v10, 0, 1, vcc
	v_cmp_ne_u32_e32 vcc, 0, v7
	v_lshrrev_b32_e32 v21, v14, v18
	v_lshlrev_b32_e32 v12, v12, v20
	v_lshl_or_b32 v19, v15, 12, v7
	v_cndmask_b32_e64 v7, 0, 1, vcc
	v_lshlrev_b32_e32 v14, v14, v21
	v_cmp_ne_u32_e32 vcc, v12, v16
	v_cndmask_b32_e64 v12, 0, 1, vcc
	v_cmp_ne_u32_e32 vcc, v14, v18
	v_cndmask_b32_e64 v14, 0, 1, vcc
	v_or_b32_e32 v12, v20, v12
	v_cmp_gt_i32_e32 vcc, 1, v13
	v_cndmask_b32_e32 v12, v17, v12, vcc
	v_or_b32_e32 v14, v21, v14
	v_cmp_gt_i32_e32 vcc, 1, v15
	v_and_b32_e32 v16, 7, v12
	v_cndmask_b32_e32 v14, v19, v14, vcc
	v_cmp_lt_i32_e32 vcc, 5, v16
	v_cmp_eq_u32_e64 s[0:1], 3, v16
	v_lshrrev_b32_e32 v12, 2, v12
	v_and_b32_e32 v17, 7, v14
	s_or_b64 vcc, s[0:1], vcc
	v_cmp_lt_i32_e64 s[2:3], 5, v17
	v_cmp_eq_u32_e64 s[4:5], 3, v17
	v_addc_co_u32_e32 v12, vcc, 0, v12, vcc
	v_lshrrev_b32_e32 v14, 2, v14
	s_or_b64 vcc, s[4:5], s[2:3]
	v_addc_co_u32_e32 v14, vcc, 0, v14, vcc
	v_cmp_gt_i32_e32 vcc, 31, v13
	v_cndmask_b32_e32 v12, v0, v12, vcc
	v_cmp_gt_i32_e32 vcc, 31, v15
	v_lshl_or_b32 v10, v10, 9, v0
	v_cndmask_b32_e32 v14, v0, v14, vcc
	v_cmp_eq_u32_e32 vcc, s18, v13
	v_lshrrev_b32_e32 v11, 16, v11
	v_lshl_or_b32 v7, v7, 9, v0
	v_cndmask_b32_e32 v10, v12, v10, vcc
	v_cmp_eq_u32_e32 vcc, s18, v15
	v_lshrrev_b32_e32 v8, 16, v8
	v_cndmask_b32_e32 v7, v14, v7, vcc
	v_and_or_b32 v10, v11, s17, v10
	v_and_or_b32 v7, v8, s17, v7
	v_and_b32_e32 v8, 0xffff, v10
	v_lshl_or_b32 v7, v7, 16, v8
	global_store_dword v[5:6], v7, off
	global_load_dword v7, v49, s[6:7] offset:3200
	v_lshrrev_b32_e32 v8, 16, v9
	v_mov_b32_e32 v11, s12
	v_add_co_u32_e32 v5, vcc, s11, v5
	v_addc_co_u32_e32 v6, vcc, v6, v11, vcc
	s_waitcnt vmcnt(0)
	v_mul_f16_sdwa v10, v8, v7 dst_sel:DWORD dst_unused:UNUSED_PAD src0_sel:DWORD src1_sel:WORD_1
	v_fma_f16 v10, v9, v7, v10
	v_mul_f16_sdwa v9, v9, v7 dst_sel:DWORD dst_unused:UNUSED_PAD src0_sel:DWORD src1_sel:WORD_1
	v_cvt_f32_f16_e32 v10, v10
	v_fma_f16 v7, v7, v8, -v9
	v_cvt_f32_f16_e32 v9, v7
	v_cvt_f64_f32_e32 v[7:8], v10
	v_cvt_f64_f32_e32 v[9:10], v9
	v_mul_f64 v[7:8], v[7:8], s[14:15]
	v_mul_f64 v[9:10], v[9:10], s[14:15]
	v_and_or_b32 v7, v8, s16, v7
	v_cmp_ne_u32_e32 vcc, 0, v7
	v_and_or_b32 v9, v10, s16, v9
	v_lshrrev_b32_e32 v11, 8, v8
	v_bfe_u32 v12, v8, 20, 11
	v_cndmask_b32_e64 v7, 0, 1, vcc
	v_cmp_ne_u32_e32 vcc, 0, v9
	v_lshrrev_b32_e32 v13, 8, v10
	v_bfe_u32 v14, v10, 20, 11
	v_sub_u32_e32 v15, 0x3f1, v12
	v_cndmask_b32_e64 v9, 0, 1, vcc
	v_and_or_b32 v7, v11, s10, v7
	v_sub_u32_e32 v16, 0x3f1, v14
	v_med3_i32 v11, v15, 0, 13
	v_and_or_b32 v9, v13, s10, v9
	v_or_b32_e32 v15, 0x1000, v7
	v_add_u32_e32 v12, 0xfffffc10, v12
	v_med3_i32 v13, v16, 0, 13
	v_cmp_ne_u32_e32 vcc, 0, v7
	v_or_b32_e32 v17, 0x1000, v9
	v_lshrrev_b32_e32 v19, v11, v15
	v_add_u32_e32 v14, 0xfffffc10, v14
	v_lshl_or_b32 v16, v12, 12, v7
	v_cndmask_b32_e64 v7, 0, 1, vcc
	v_cmp_ne_u32_e32 vcc, 0, v9
	v_lshrrev_b32_e32 v20, v13, v17
	v_lshlrev_b32_e32 v11, v11, v19
	v_lshl_or_b32 v18, v14, 12, v9
	v_cndmask_b32_e64 v9, 0, 1, vcc
	v_lshlrev_b32_e32 v13, v13, v20
	v_cmp_ne_u32_e32 vcc, v11, v15
	v_cndmask_b32_e64 v11, 0, 1, vcc
	v_cmp_ne_u32_e32 vcc, v13, v17
	v_cndmask_b32_e64 v13, 0, 1, vcc
	v_or_b32_e32 v11, v19, v11
	v_cmp_gt_i32_e32 vcc, 1, v12
	v_cndmask_b32_e32 v11, v16, v11, vcc
	v_or_b32_e32 v13, v20, v13
	v_cmp_gt_i32_e32 vcc, 1, v14
	v_and_b32_e32 v15, 7, v11
	v_cndmask_b32_e32 v13, v18, v13, vcc
	v_cmp_lt_i32_e32 vcc, 5, v15
	v_cmp_eq_u32_e64 s[0:1], 3, v15
	v_lshrrev_b32_e32 v11, 2, v11
	v_and_b32_e32 v16, 7, v13
	s_or_b64 vcc, s[0:1], vcc
	v_cmp_lt_i32_e64 s[2:3], 5, v16
	v_cmp_eq_u32_e64 s[4:5], 3, v16
	v_addc_co_u32_e32 v11, vcc, 0, v11, vcc
	v_lshrrev_b32_e32 v13, 2, v13
	s_or_b64 vcc, s[4:5], s[2:3]
	v_addc_co_u32_e32 v13, vcc, 0, v13, vcc
	v_cmp_gt_i32_e32 vcc, 31, v12
	v_cndmask_b32_e32 v11, v0, v11, vcc
	v_cmp_gt_i32_e32 vcc, 31, v14
	v_lshl_or_b32 v7, v7, 9, v0
	v_cndmask_b32_e32 v13, v0, v13, vcc
	v_cmp_eq_u32_e32 vcc, s18, v12
	v_lshrrev_b32_e32 v8, 16, v8
	v_lshl_or_b32 v9, v9, 9, v0
	v_cndmask_b32_e32 v7, v11, v7, vcc
	v_cmp_eq_u32_e32 vcc, s18, v14
	v_lshrrev_b32_e32 v10, 16, v10
	v_cndmask_b32_e32 v9, v13, v9, vcc
	v_and_or_b32 v7, v8, s17, v7
	v_and_or_b32 v8, v10, s17, v9
	v_and_b32_e32 v7, 0xffff, v7
	v_lshl_or_b32 v7, v8, 16, v7
	global_store_dword v[5:6], v7, off
	global_load_dword v9, v49, s[6:7] offset:3520
	ds_read2_b32 v[7:8], v4 offset0:112 offset1:192
	s_waitcnt lgkmcnt(0)
	v_lshrrev_b32_e32 v4, 16, v7
	s_waitcnt vmcnt(0)
	v_mul_f16_sdwa v10, v4, v9 dst_sel:DWORD dst_unused:UNUSED_PAD src0_sel:DWORD src1_sel:WORD_1
	v_fma_f16 v10, v7, v9, v10
	v_mul_f16_sdwa v7, v7, v9 dst_sel:DWORD dst_unused:UNUSED_PAD src0_sel:DWORD src1_sel:WORD_1
	v_cvt_f32_f16_e32 v10, v10
	v_fma_f16 v4, v9, v4, -v7
	v_cvt_f32_f16_e32 v4, v4
	v_mov_b32_e32 v7, s12
	v_cvt_f64_f32_e32 v[9:10], v10
	v_cvt_f64_f32_e32 v[11:12], v4
	v_add_co_u32_e32 v4, vcc, s11, v5
	v_mul_f64 v[9:10], v[9:10], s[14:15]
	v_mul_f64 v[11:12], v[11:12], s[14:15]
	v_addc_co_u32_e32 v5, vcc, v6, v7, vcc
	v_and_or_b32 v6, v10, s16, v9
	v_and_or_b32 v11, v12, s16, v11
	v_cmp_ne_u32_e32 vcc, 0, v6
	v_lshrrev_b32_e32 v7, 8, v10
	v_bfe_u32 v9, v10, 20, 11
	v_cndmask_b32_e64 v6, 0, 1, vcc
	v_cmp_ne_u32_e32 vcc, 0, v11
	v_lshrrev_b32_e32 v13, 8, v12
	v_bfe_u32 v14, v12, 20, 11
	v_sub_u32_e32 v15, 0x3f1, v9
	v_cndmask_b32_e64 v11, 0, 1, vcc
	v_and_or_b32 v6, v7, s10, v6
	v_sub_u32_e32 v16, 0x3f1, v14
	v_med3_i32 v7, v15, 0, 13
	v_and_or_b32 v11, v13, s10, v11
	v_or_b32_e32 v15, 0x1000, v6
	v_add_u32_e32 v9, 0xfffffc10, v9
	v_med3_i32 v13, v16, 0, 13
	v_cmp_ne_u32_e32 vcc, 0, v6
	v_or_b32_e32 v17, 0x1000, v11
	v_lshrrev_b32_e32 v19, v7, v15
	v_add_u32_e32 v14, 0xfffffc10, v14
	v_lshl_or_b32 v16, v9, 12, v6
	v_cndmask_b32_e64 v6, 0, 1, vcc
	v_cmp_ne_u32_e32 vcc, 0, v11
	v_lshrrev_b32_e32 v20, v13, v17
	v_lshlrev_b32_e32 v7, v7, v19
	v_lshl_or_b32 v18, v14, 12, v11
	v_cndmask_b32_e64 v11, 0, 1, vcc
	v_lshlrev_b32_e32 v13, v13, v20
	v_cmp_ne_u32_e32 vcc, v7, v15
	v_cndmask_b32_e64 v7, 0, 1, vcc
	v_cmp_ne_u32_e32 vcc, v13, v17
	v_cndmask_b32_e64 v13, 0, 1, vcc
	v_or_b32_e32 v7, v19, v7
	v_cmp_gt_i32_e32 vcc, 1, v9
	v_cndmask_b32_e32 v7, v16, v7, vcc
	v_or_b32_e32 v13, v20, v13
	v_cmp_gt_i32_e32 vcc, 1, v14
	v_and_b32_e32 v15, 7, v7
	v_cndmask_b32_e32 v13, v18, v13, vcc
	v_cmp_lt_i32_e32 vcc, 5, v15
	v_cmp_eq_u32_e64 s[0:1], 3, v15
	v_lshrrev_b32_e32 v7, 2, v7
	v_and_b32_e32 v16, 7, v13
	s_or_b64 vcc, s[0:1], vcc
	v_cmp_lt_i32_e64 s[2:3], 5, v16
	v_cmp_eq_u32_e64 s[4:5], 3, v16
	v_addc_co_u32_e32 v7, vcc, 0, v7, vcc
	v_lshrrev_b32_e32 v13, 2, v13
	s_or_b64 vcc, s[4:5], s[2:3]
	v_addc_co_u32_e32 v13, vcc, 0, v13, vcc
	v_cmp_gt_i32_e32 vcc, 31, v9
	v_cndmask_b32_e32 v7, v0, v7, vcc
	v_cmp_gt_i32_e32 vcc, 31, v14
	v_lshl_or_b32 v6, v6, 9, v0
	v_cndmask_b32_e32 v13, v0, v13, vcc
	v_cmp_eq_u32_e32 vcc, s18, v9
	v_lshrrev_b32_e32 v10, 16, v10
	v_lshl_or_b32 v11, v11, 9, v0
	v_cndmask_b32_e32 v6, v7, v6, vcc
	v_cmp_eq_u32_e32 vcc, s18, v14
	v_lshrrev_b32_e32 v12, 16, v12
	v_cndmask_b32_e32 v7, v13, v11, vcc
	v_and_or_b32 v6, v10, s17, v6
	v_and_or_b32 v7, v12, s17, v7
	v_and_b32_e32 v6, 0xffff, v6
	v_lshl_or_b32 v6, v7, 16, v6
	global_store_dword v[4:5], v6, off
	global_load_dword v6, v49, s[6:7] offset:3840
	v_lshrrev_b32_e32 v7, 16, v8
	v_mov_b32_e32 v9, s7
	v_mov_b32_e32 v12, s12
	s_waitcnt vmcnt(0)
	v_mul_f16_sdwa v10, v7, v6 dst_sel:DWORD dst_unused:UNUSED_PAD src0_sel:DWORD src1_sel:WORD_1
	v_fma_f16 v10, v8, v6, v10
	v_mul_f16_sdwa v8, v8, v6 dst_sel:DWORD dst_unused:UNUSED_PAD src0_sel:DWORD src1_sel:WORD_1
	v_cvt_f32_f16_e32 v10, v10
	v_fma_f16 v6, v6, v7, -v8
	v_cvt_f32_f16_e32 v8, v6
	v_cvt_f64_f32_e32 v[6:7], v10
	v_add_co_u32_e32 v10, vcc, s6, v49
	v_addc_co_u32_e32 v11, vcc, 0, v9, vcc
	v_cvt_f64_f32_e32 v[8:9], v8
	v_mul_f64 v[6:7], v[6:7], s[14:15]
	v_add_co_u32_e32 v10, vcc, s19, v10
	v_mul_f64 v[8:9], v[8:9], s[14:15]
	v_addc_co_u32_e32 v11, vcc, 0, v11, vcc
	v_add_co_u32_e32 v4, vcc, s11, v4
	v_addc_co_u32_e32 v5, vcc, v5, v12, vcc
	v_and_or_b32 v6, v7, s16, v6
	v_and_or_b32 v8, v9, s16, v8
	v_cmp_ne_u32_e32 vcc, 0, v6
	v_lshrrev_b32_e32 v12, 8, v7
	v_bfe_u32 v13, v7, 20, 11
	v_cndmask_b32_e64 v6, 0, 1, vcc
	v_cmp_ne_u32_e32 vcc, 0, v8
	v_lshrrev_b32_e32 v14, 8, v9
	v_bfe_u32 v15, v9, 20, 11
	v_sub_u32_e32 v16, 0x3f1, v13
	v_cndmask_b32_e64 v8, 0, 1, vcc
	v_and_or_b32 v6, v12, s10, v6
	v_sub_u32_e32 v17, 0x3f1, v15
	v_med3_i32 v12, v16, 0, 13
	v_and_or_b32 v8, v14, s10, v8
	v_or_b32_e32 v16, 0x1000, v6
	v_add_u32_e32 v13, 0xfffffc10, v13
	v_med3_i32 v14, v17, 0, 13
	v_cmp_ne_u32_e32 vcc, 0, v6
	v_or_b32_e32 v18, 0x1000, v8
	v_lshrrev_b32_e32 v20, v12, v16
	v_add_u32_e32 v15, 0xfffffc10, v15
	v_lshl_or_b32 v17, v13, 12, v6
	v_cndmask_b32_e64 v6, 0, 1, vcc
	v_cmp_ne_u32_e32 vcc, 0, v8
	v_lshrrev_b32_e32 v21, v14, v18
	v_lshlrev_b32_e32 v12, v12, v20
	v_lshl_or_b32 v19, v15, 12, v8
	v_cndmask_b32_e64 v8, 0, 1, vcc
	v_lshlrev_b32_e32 v14, v14, v21
	v_cmp_ne_u32_e32 vcc, v12, v16
	v_cndmask_b32_e64 v12, 0, 1, vcc
	v_cmp_ne_u32_e32 vcc, v14, v18
	v_cndmask_b32_e64 v14, 0, 1, vcc
	v_or_b32_e32 v12, v20, v12
	v_cmp_gt_i32_e32 vcc, 1, v13
	v_cndmask_b32_e32 v12, v17, v12, vcc
	v_or_b32_e32 v14, v21, v14
	v_cmp_gt_i32_e32 vcc, 1, v15
	v_and_b32_e32 v16, 7, v12
	v_cndmask_b32_e32 v14, v19, v14, vcc
	v_cmp_lt_i32_e32 vcc, 5, v16
	v_cmp_eq_u32_e64 s[0:1], 3, v16
	v_lshrrev_b32_e32 v12, 2, v12
	v_and_b32_e32 v17, 7, v14
	s_or_b64 vcc, s[0:1], vcc
	v_cmp_lt_i32_e64 s[2:3], 5, v17
	v_cmp_eq_u32_e64 s[4:5], 3, v17
	v_addc_co_u32_e32 v12, vcc, 0, v12, vcc
	v_lshrrev_b32_e32 v14, 2, v14
	s_or_b64 vcc, s[4:5], s[2:3]
	v_addc_co_u32_e32 v14, vcc, 0, v14, vcc
	v_cmp_gt_i32_e32 vcc, 31, v13
	v_cndmask_b32_e32 v12, v0, v12, vcc
	v_cmp_gt_i32_e32 vcc, 31, v15
	v_lshl_or_b32 v6, v6, 9, v0
	v_cndmask_b32_e32 v14, v0, v14, vcc
	v_cmp_eq_u32_e32 vcc, s18, v13
	v_lshrrev_b32_e32 v7, 16, v7
	v_lshl_or_b32 v8, v8, 9, v0
	v_cndmask_b32_e32 v6, v12, v6, vcc
	v_cmp_eq_u32_e32 vcc, s18, v15
	v_lshrrev_b32_e32 v9, 16, v9
	v_cndmask_b32_e32 v8, v14, v8, vcc
	v_and_or_b32 v6, v7, s17, v6
	v_and_or_b32 v7, v9, s17, v8
	v_and_b32_e32 v6, 0xffff, v6
	v_lshl_or_b32 v6, v7, 16, v6
	global_store_dword v[4:5], v6, off
	global_load_dword v8, v[10:11], off offset:64
	ds_read2_b32 v[6:7], v3 offset0:16 offset1:96
	s_waitcnt lgkmcnt(0)
	v_lshrrev_b32_e32 v3, 16, v6
	s_waitcnt vmcnt(0)
	v_mul_f16_sdwa v9, v3, v8 dst_sel:DWORD dst_unused:UNUSED_PAD src0_sel:DWORD src1_sel:WORD_1
	v_fma_f16 v9, v6, v8, v9
	v_mul_f16_sdwa v6, v6, v8 dst_sel:DWORD dst_unused:UNUSED_PAD src0_sel:DWORD src1_sel:WORD_1
	v_cvt_f32_f16_e32 v9, v9
	v_fma_f16 v3, v8, v3, -v6
	v_cvt_f32_f16_e32 v3, v3
	v_mov_b32_e32 v6, s12
	v_cvt_f64_f32_e32 v[8:9], v9
	v_cvt_f64_f32_e32 v[12:13], v3
	v_add_co_u32_e32 v3, vcc, s11, v4
	v_mul_f64 v[8:9], v[8:9], s[14:15]
	v_mul_f64 v[12:13], v[12:13], s[14:15]
	v_addc_co_u32_e32 v4, vcc, v5, v6, vcc
	v_and_or_b32 v5, v9, s16, v8
	v_and_or_b32 v12, v13, s16, v12
	v_cmp_ne_u32_e32 vcc, 0, v5
	v_lshrrev_b32_e32 v6, 8, v9
	v_bfe_u32 v8, v9, 20, 11
	v_cndmask_b32_e64 v5, 0, 1, vcc
	v_cmp_ne_u32_e32 vcc, 0, v12
	v_lshrrev_b32_e32 v14, 8, v13
	v_bfe_u32 v15, v13, 20, 11
	v_sub_u32_e32 v16, 0x3f1, v8
	v_cndmask_b32_e64 v12, 0, 1, vcc
	v_and_or_b32 v5, v6, s10, v5
	v_sub_u32_e32 v17, 0x3f1, v15
	v_med3_i32 v6, v16, 0, 13
	v_and_or_b32 v12, v14, s10, v12
	v_or_b32_e32 v16, 0x1000, v5
	v_add_u32_e32 v8, 0xfffffc10, v8
	v_med3_i32 v14, v17, 0, 13
	v_cmp_ne_u32_e32 vcc, 0, v5
	v_or_b32_e32 v18, 0x1000, v12
	v_lshrrev_b32_e32 v20, v6, v16
	v_add_u32_e32 v15, 0xfffffc10, v15
	v_lshl_or_b32 v17, v8, 12, v5
	v_cndmask_b32_e64 v5, 0, 1, vcc
	v_cmp_ne_u32_e32 vcc, 0, v12
	v_lshrrev_b32_e32 v21, v14, v18
	v_lshlrev_b32_e32 v6, v6, v20
	v_lshl_or_b32 v19, v15, 12, v12
	v_cndmask_b32_e64 v12, 0, 1, vcc
	v_lshlrev_b32_e32 v14, v14, v21
	v_cmp_ne_u32_e32 vcc, v6, v16
	v_cndmask_b32_e64 v6, 0, 1, vcc
	v_cmp_ne_u32_e32 vcc, v14, v18
	v_cndmask_b32_e64 v14, 0, 1, vcc
	v_or_b32_e32 v6, v20, v6
	v_cmp_gt_i32_e32 vcc, 1, v8
	v_cndmask_b32_e32 v6, v17, v6, vcc
	v_or_b32_e32 v14, v21, v14
	v_cmp_gt_i32_e32 vcc, 1, v15
	v_and_b32_e32 v16, 7, v6
	v_cndmask_b32_e32 v14, v19, v14, vcc
	v_cmp_lt_i32_e32 vcc, 5, v16
	v_cmp_eq_u32_e64 s[0:1], 3, v16
	v_lshrrev_b32_e32 v6, 2, v6
	v_and_b32_e32 v17, 7, v14
	s_or_b64 vcc, s[0:1], vcc
	v_cmp_lt_i32_e64 s[2:3], 5, v17
	v_cmp_eq_u32_e64 s[4:5], 3, v17
	v_addc_co_u32_e32 v6, vcc, 0, v6, vcc
	v_lshrrev_b32_e32 v14, 2, v14
	s_or_b64 vcc, s[4:5], s[2:3]
	v_addc_co_u32_e32 v14, vcc, 0, v14, vcc
	v_cmp_gt_i32_e32 vcc, 31, v8
	v_cndmask_b32_e32 v6, v0, v6, vcc
	v_cmp_gt_i32_e32 vcc, 31, v15
	v_lshl_or_b32 v5, v5, 9, v0
	v_cndmask_b32_e32 v14, v0, v14, vcc
	v_cmp_eq_u32_e32 vcc, s18, v8
	v_lshrrev_b32_e32 v9, 16, v9
	v_lshl_or_b32 v12, v12, 9, v0
	v_cndmask_b32_e32 v5, v6, v5, vcc
	v_cmp_eq_u32_e32 vcc, s18, v15
	v_lshrrev_b32_e32 v13, 16, v13
	v_cndmask_b32_e32 v6, v14, v12, vcc
	v_and_or_b32 v5, v9, s17, v5
	v_and_or_b32 v6, v13, s17, v6
	v_and_b32_e32 v5, 0xffff, v5
	v_lshl_or_b32 v5, v6, 16, v5
	global_store_dword v[3:4], v5, off
	global_load_dword v5, v[10:11], off offset:384
	v_lshrrev_b32_e32 v6, 16, v7
	v_mov_b32_e32 v9, s12
	v_add_co_u32_e32 v3, vcc, s11, v3
	v_addc_co_u32_e32 v4, vcc, v4, v9, vcc
	s_waitcnt vmcnt(0)
	v_mul_f16_sdwa v8, v6, v5 dst_sel:DWORD dst_unused:UNUSED_PAD src0_sel:DWORD src1_sel:WORD_1
	v_fma_f16 v8, v7, v5, v8
	v_mul_f16_sdwa v7, v7, v5 dst_sel:DWORD dst_unused:UNUSED_PAD src0_sel:DWORD src1_sel:WORD_1
	v_cvt_f32_f16_e32 v8, v8
	v_fma_f16 v5, v5, v6, -v7
	v_cvt_f32_f16_e32 v7, v5
	v_cvt_f64_f32_e32 v[5:6], v8
	v_cvt_f64_f32_e32 v[7:8], v7
	v_mul_f64 v[5:6], v[5:6], s[14:15]
	v_mul_f64 v[7:8], v[7:8], s[14:15]
	v_and_or_b32 v5, v6, s16, v5
	v_cmp_ne_u32_e32 vcc, 0, v5
	v_and_or_b32 v7, v8, s16, v7
	v_lshrrev_b32_e32 v9, 8, v6
	v_bfe_u32 v12, v6, 20, 11
	v_cndmask_b32_e64 v5, 0, 1, vcc
	v_cmp_ne_u32_e32 vcc, 0, v7
	v_lshrrev_b32_e32 v13, 8, v8
	v_bfe_u32 v14, v8, 20, 11
	v_sub_u32_e32 v15, 0x3f1, v12
	v_cndmask_b32_e64 v7, 0, 1, vcc
	v_and_or_b32 v5, v9, s10, v5
	v_sub_u32_e32 v16, 0x3f1, v14
	v_med3_i32 v9, v15, 0, 13
	v_and_or_b32 v7, v13, s10, v7
	v_or_b32_e32 v15, 0x1000, v5
	v_add_u32_e32 v12, 0xfffffc10, v12
	v_med3_i32 v13, v16, 0, 13
	v_cmp_ne_u32_e32 vcc, 0, v5
	v_or_b32_e32 v17, 0x1000, v7
	v_lshrrev_b32_e32 v19, v9, v15
	v_add_u32_e32 v14, 0xfffffc10, v14
	v_lshl_or_b32 v16, v12, 12, v5
	v_cndmask_b32_e64 v5, 0, 1, vcc
	v_cmp_ne_u32_e32 vcc, 0, v7
	v_lshrrev_b32_e32 v20, v13, v17
	v_lshlrev_b32_e32 v9, v9, v19
	v_lshl_or_b32 v18, v14, 12, v7
	v_cndmask_b32_e64 v7, 0, 1, vcc
	v_lshlrev_b32_e32 v13, v13, v20
	v_cmp_ne_u32_e32 vcc, v9, v15
	v_cndmask_b32_e64 v9, 0, 1, vcc
	v_cmp_ne_u32_e32 vcc, v13, v17
	v_cndmask_b32_e64 v13, 0, 1, vcc
	v_or_b32_e32 v9, v19, v9
	v_cmp_gt_i32_e32 vcc, 1, v12
	v_cndmask_b32_e32 v9, v16, v9, vcc
	v_or_b32_e32 v13, v20, v13
	v_cmp_gt_i32_e32 vcc, 1, v14
	v_and_b32_e32 v15, 7, v9
	v_cndmask_b32_e32 v13, v18, v13, vcc
	v_cmp_lt_i32_e32 vcc, 5, v15
	v_cmp_eq_u32_e64 s[0:1], 3, v15
	v_lshrrev_b32_e32 v9, 2, v9
	v_and_b32_e32 v16, 7, v13
	s_or_b64 vcc, s[0:1], vcc
	v_cmp_lt_i32_e64 s[2:3], 5, v16
	v_cmp_eq_u32_e64 s[4:5], 3, v16
	v_addc_co_u32_e32 v9, vcc, 0, v9, vcc
	v_lshrrev_b32_e32 v13, 2, v13
	s_or_b64 vcc, s[4:5], s[2:3]
	v_addc_co_u32_e32 v13, vcc, 0, v13, vcc
	v_cmp_gt_i32_e32 vcc, 31, v12
	v_cndmask_b32_e32 v9, v0, v9, vcc
	v_cmp_gt_i32_e32 vcc, 31, v14
	v_lshl_or_b32 v5, v5, 9, v0
	v_cndmask_b32_e32 v13, v0, v13, vcc
	v_cmp_eq_u32_e32 vcc, s18, v12
	v_lshrrev_b32_e32 v6, 16, v6
	v_lshl_or_b32 v7, v7, 9, v0
	v_cndmask_b32_e32 v5, v9, v5, vcc
	v_cmp_eq_u32_e32 vcc, s18, v14
	v_lshrrev_b32_e32 v8, 16, v8
	v_cndmask_b32_e32 v7, v13, v7, vcc
	v_and_or_b32 v5, v6, s17, v5
	v_and_or_b32 v6, v8, s17, v7
	v_and_b32_e32 v5, 0xffff, v5
	v_lshl_or_b32 v5, v6, 16, v5
	global_store_dword v[3:4], v5, off
	global_load_dword v7, v[10:11], off offset:704
	v_add_u32_e32 v5, 0x1200, v50
	ds_read2_b32 v[5:6], v5 offset0:48 offset1:128
	v_mov_b32_e32 v12, s12
	v_add_co_u32_e32 v3, vcc, s11, v3
	v_addc_co_u32_e32 v4, vcc, v4, v12, vcc
	s_waitcnt lgkmcnt(0)
	v_lshrrev_b32_e32 v8, 16, v5
	v_or_b32_e32 v11, 0x500, v183
	s_waitcnt vmcnt(0)
	v_mul_f16_sdwa v9, v8, v7 dst_sel:DWORD dst_unused:UNUSED_PAD src0_sel:DWORD src1_sel:WORD_1
	v_fma_f16 v9, v5, v7, v9
	v_mul_f16_sdwa v5, v5, v7 dst_sel:DWORD dst_unused:UNUSED_PAD src0_sel:DWORD src1_sel:WORD_1
	v_cvt_f32_f16_e32 v9, v9
	v_fma_f16 v5, v7, v8, -v5
	v_cvt_f32_f16_e32 v5, v5
	v_cvt_f64_f32_e32 v[7:8], v9
	v_cvt_f64_f32_e32 v[9:10], v5
	v_lshlrev_b32_e32 v5, 2, v11
	v_mul_f64 v[7:8], v[7:8], s[14:15]
	v_mul_f64 v[9:10], v[9:10], s[14:15]
	v_and_or_b32 v7, v8, s16, v7
	v_cmp_ne_u32_e32 vcc, 0, v7
	v_and_or_b32 v9, v10, s16, v9
	v_lshrrev_b32_e32 v12, 8, v8
	v_bfe_u32 v13, v8, 20, 11
	v_cndmask_b32_e64 v7, 0, 1, vcc
	v_cmp_ne_u32_e32 vcc, 0, v9
	v_lshrrev_b32_e32 v14, 8, v10
	v_bfe_u32 v15, v10, 20, 11
	v_sub_u32_e32 v16, 0x3f1, v13
	v_cndmask_b32_e64 v9, 0, 1, vcc
	v_and_or_b32 v7, v12, s10, v7
	v_sub_u32_e32 v17, 0x3f1, v15
	v_med3_i32 v12, v16, 0, 13
	v_and_or_b32 v9, v14, s10, v9
	v_or_b32_e32 v16, 0x1000, v7
	v_add_u32_e32 v13, 0xfffffc10, v13
	v_med3_i32 v14, v17, 0, 13
	v_cmp_ne_u32_e32 vcc, 0, v7
	v_or_b32_e32 v18, 0x1000, v9
	v_lshrrev_b32_e32 v20, v12, v16
	v_add_u32_e32 v15, 0xfffffc10, v15
	v_lshl_or_b32 v17, v13, 12, v7
	v_cndmask_b32_e64 v7, 0, 1, vcc
	v_cmp_ne_u32_e32 vcc, 0, v9
	v_lshrrev_b32_e32 v21, v14, v18
	v_lshlrev_b32_e32 v12, v12, v20
	v_lshl_or_b32 v19, v15, 12, v9
	v_cndmask_b32_e64 v9, 0, 1, vcc
	v_lshlrev_b32_e32 v14, v14, v21
	v_cmp_ne_u32_e32 vcc, v12, v16
	v_cndmask_b32_e64 v12, 0, 1, vcc
	v_cmp_ne_u32_e32 vcc, v14, v18
	v_cndmask_b32_e64 v14, 0, 1, vcc
	v_or_b32_e32 v12, v20, v12
	v_cmp_gt_i32_e32 vcc, 1, v13
	v_cndmask_b32_e32 v12, v17, v12, vcc
	v_or_b32_e32 v14, v21, v14
	v_cmp_gt_i32_e32 vcc, 1, v15
	v_and_b32_e32 v16, 7, v12
	v_cndmask_b32_e32 v14, v19, v14, vcc
	v_cmp_lt_i32_e32 vcc, 5, v16
	v_cmp_eq_u32_e64 s[0:1], 3, v16
	v_lshrrev_b32_e32 v12, 2, v12
	v_and_b32_e32 v17, 7, v14
	s_or_b64 vcc, s[0:1], vcc
	v_cmp_lt_i32_e64 s[2:3], 5, v17
	v_cmp_eq_u32_e64 s[4:5], 3, v17
	v_addc_co_u32_e32 v12, vcc, 0, v12, vcc
	v_lshrrev_b32_e32 v14, 2, v14
	s_or_b64 vcc, s[4:5], s[2:3]
	v_addc_co_u32_e32 v14, vcc, 0, v14, vcc
	v_cmp_gt_i32_e32 vcc, 31, v13
	v_cndmask_b32_e32 v12, v0, v12, vcc
	v_cmp_gt_i32_e32 vcc, 31, v15
	v_lshl_or_b32 v7, v7, 9, v0
	v_cndmask_b32_e32 v14, v0, v14, vcc
	v_cmp_eq_u32_e32 vcc, s18, v13
	v_lshrrev_b32_e32 v8, 16, v8
	v_lshl_or_b32 v9, v9, 9, v0
	v_cndmask_b32_e32 v7, v12, v7, vcc
	v_cmp_eq_u32_e32 vcc, s18, v15
	v_lshrrev_b32_e32 v10, 16, v10
	v_cndmask_b32_e32 v9, v14, v9, vcc
	v_and_or_b32 v7, v8, s17, v7
	v_and_or_b32 v8, v10, s17, v9
	v_and_b32_e32 v7, 0xffff, v7
	v_lshl_or_b32 v7, v8, 16, v7
	global_store_dword v[3:4], v7, off
	global_load_dword v5, v5, s[6:7]
	v_lshrrev_b32_e32 v7, 16, v6
	v_mad_u64_u32 v[3:4], s[0:1], s8, v11, 0
	s_waitcnt vmcnt(0)
	v_mul_f16_sdwa v8, v7, v5 dst_sel:DWORD dst_unused:UNUSED_PAD src0_sel:DWORD src1_sel:WORD_1
	v_fma_f16 v8, v6, v5, v8
	v_cvt_f32_f16_e32 v8, v8
	v_mul_f16_sdwa v6, v6, v5 dst_sel:DWORD dst_unused:UNUSED_PAD src0_sel:DWORD src1_sel:WORD_1
	v_fma_f16 v5, v5, v7, -v6
	v_cvt_f32_f16_e32 v7, v5
	v_cvt_f64_f32_e32 v[5:6], v8
	v_cvt_f64_f32_e32 v[7:8], v7
	v_mul_f64 v[5:6], v[5:6], s[14:15]
	v_mul_f64 v[7:8], v[7:8], s[14:15]
	v_mad_u64_u32 v[9:10], s[0:1], s9, v11, v[4:5]
	v_and_or_b32 v5, v6, s16, v5
	v_and_or_b32 v7, v8, s16, v7
	v_cmp_ne_u32_e32 vcc, 0, v5
	v_mov_b32_e32 v4, v9
	v_lshrrev_b32_e32 v9, 8, v6
	v_bfe_u32 v10, v6, 20, 11
	v_cndmask_b32_e64 v5, 0, 1, vcc
	v_cmp_ne_u32_e32 vcc, 0, v7
	v_lshrrev_b32_e32 v11, 8, v8
	v_bfe_u32 v12, v8, 20, 11
	v_sub_u32_e32 v13, 0x3f1, v10
	v_cndmask_b32_e64 v7, 0, 1, vcc
	v_and_or_b32 v5, v9, s10, v5
	v_sub_u32_e32 v14, 0x3f1, v12
	v_med3_i32 v9, v13, 0, 13
	v_and_or_b32 v7, v11, s10, v7
	v_or_b32_e32 v13, 0x1000, v5
	v_add_u32_e32 v10, 0xfffffc10, v10
	v_med3_i32 v11, v14, 0, 13
	v_cmp_ne_u32_e32 vcc, 0, v5
	v_or_b32_e32 v15, 0x1000, v7
	v_lshrrev_b32_e32 v17, v9, v13
	v_add_u32_e32 v12, 0xfffffc10, v12
	v_lshl_or_b32 v14, v10, 12, v5
	v_cndmask_b32_e64 v5, 0, 1, vcc
	v_cmp_ne_u32_e32 vcc, 0, v7
	v_lshrrev_b32_e32 v18, v11, v15
	v_lshlrev_b32_e32 v9, v9, v17
	v_lshl_or_b32 v16, v12, 12, v7
	v_cndmask_b32_e64 v7, 0, 1, vcc
	v_lshlrev_b32_e32 v11, v11, v18
	v_cmp_ne_u32_e32 vcc, v9, v13
	v_cndmask_b32_e64 v9, 0, 1, vcc
	v_cmp_ne_u32_e32 vcc, v11, v15
	v_cndmask_b32_e64 v11, 0, 1, vcc
	v_or_b32_e32 v9, v17, v9
	v_cmp_gt_i32_e32 vcc, 1, v10
	v_cndmask_b32_e32 v9, v14, v9, vcc
	v_or_b32_e32 v11, v18, v11
	v_cmp_gt_i32_e32 vcc, 1, v12
	v_and_b32_e32 v13, 7, v9
	v_cndmask_b32_e32 v11, v16, v11, vcc
	v_cmp_lt_i32_e32 vcc, 5, v13
	v_cmp_eq_u32_e64 s[0:1], 3, v13
	v_lshrrev_b32_e32 v9, 2, v9
	v_and_b32_e32 v14, 7, v11
	s_or_b64 vcc, s[0:1], vcc
	v_cmp_lt_i32_e64 s[2:3], 5, v14
	v_cmp_eq_u32_e64 s[4:5], 3, v14
	v_addc_co_u32_e32 v9, vcc, 0, v9, vcc
	v_lshrrev_b32_e32 v11, 2, v11
	s_or_b64 vcc, s[4:5], s[2:3]
	v_addc_co_u32_e32 v11, vcc, 0, v11, vcc
	v_cmp_gt_i32_e32 vcc, 31, v10
	v_cndmask_b32_e32 v9, v0, v9, vcc
	v_cmp_gt_i32_e32 vcc, 31, v12
	v_lshl_or_b32 v5, v5, 9, v0
	v_lshl_or_b32 v7, v7, 9, v0
	v_cndmask_b32_e32 v0, v0, v11, vcc
	v_cmp_eq_u32_e32 vcc, s18, v10
	v_lshrrev_b32_e32 v6, 16, v6
	v_cndmask_b32_e32 v5, v9, v5, vcc
	v_cmp_eq_u32_e32 vcc, s18, v12
	v_lshlrev_b64 v[3:4], 2, v[3:4]
	v_lshrrev_b32_e32 v8, 16, v8
	v_cndmask_b32_e32 v0, v0, v7, vcc
	v_and_or_b32 v5, v6, s17, v5
	v_and_or_b32 v0, v8, s17, v0
	v_and_b32_e32 v5, 0xffff, v5
	v_lshl_or_b32 v5, v0, 16, v5
	v_add_co_u32_e32 v0, vcc, v1, v3
	v_addc_co_u32_e32 v1, vcc, v2, v4, vcc
	global_store_dword v[0:1], v5, off
.LBB0_23:
	s_endpgm
	.section	.rodata,"a",@progbits
	.p2align	6, 0x0
	.amdhsa_kernel bluestein_single_fwd_len1360_dim1_half_op_CI_CI
		.amdhsa_group_segment_fixed_size 16320
		.amdhsa_private_segment_fixed_size 80
		.amdhsa_kernarg_size 104
		.amdhsa_user_sgpr_count 6
		.amdhsa_user_sgpr_private_segment_buffer 1
		.amdhsa_user_sgpr_dispatch_ptr 0
		.amdhsa_user_sgpr_queue_ptr 0
		.amdhsa_user_sgpr_kernarg_segment_ptr 1
		.amdhsa_user_sgpr_dispatch_id 0
		.amdhsa_user_sgpr_flat_scratch_init 0
		.amdhsa_user_sgpr_private_segment_size 0
		.amdhsa_uses_dynamic_stack 0
		.amdhsa_system_sgpr_private_segment_wavefront_offset 1
		.amdhsa_system_sgpr_workgroup_id_x 1
		.amdhsa_system_sgpr_workgroup_id_y 0
		.amdhsa_system_sgpr_workgroup_id_z 0
		.amdhsa_system_sgpr_workgroup_info 0
		.amdhsa_system_vgpr_workitem_id 0
		.amdhsa_next_free_vgpr 256
		.amdhsa_next_free_sgpr 40
		.amdhsa_reserve_vcc 1
		.amdhsa_reserve_flat_scratch 0
		.amdhsa_float_round_mode_32 0
		.amdhsa_float_round_mode_16_64 0
		.amdhsa_float_denorm_mode_32 3
		.amdhsa_float_denorm_mode_16_64 3
		.amdhsa_dx10_clamp 1
		.amdhsa_ieee_mode 1
		.amdhsa_fp16_overflow 0
		.amdhsa_exception_fp_ieee_invalid_op 0
		.amdhsa_exception_fp_denorm_src 0
		.amdhsa_exception_fp_ieee_div_zero 0
		.amdhsa_exception_fp_ieee_overflow 0
		.amdhsa_exception_fp_ieee_underflow 0
		.amdhsa_exception_fp_ieee_inexact 0
		.amdhsa_exception_int_div_zero 0
	.end_amdhsa_kernel
	.text
.Lfunc_end0:
	.size	bluestein_single_fwd_len1360_dim1_half_op_CI_CI, .Lfunc_end0-bluestein_single_fwd_len1360_dim1_half_op_CI_CI
                                        ; -- End function
	.section	.AMDGPU.csdata,"",@progbits
; Kernel info:
; codeLenInByte = 31688
; NumSgprs: 44
; NumVgprs: 256
; ScratchSize: 80
; MemoryBound: 0
; FloatMode: 240
; IeeeMode: 1
; LDSByteSize: 16320 bytes/workgroup (compile time only)
; SGPRBlocks: 5
; VGPRBlocks: 63
; NumSGPRsForWavesPerEU: 44
; NumVGPRsForWavesPerEU: 256
; Occupancy: 1
; WaveLimiterHint : 1
; COMPUTE_PGM_RSRC2:SCRATCH_EN: 1
; COMPUTE_PGM_RSRC2:USER_SGPR: 6
; COMPUTE_PGM_RSRC2:TRAP_HANDLER: 0
; COMPUTE_PGM_RSRC2:TGID_X_EN: 1
; COMPUTE_PGM_RSRC2:TGID_Y_EN: 0
; COMPUTE_PGM_RSRC2:TGID_Z_EN: 0
; COMPUTE_PGM_RSRC2:TIDIG_COMP_CNT: 0
	.type	__hip_cuid_785d67a0c1cf0297,@object ; @__hip_cuid_785d67a0c1cf0297
	.section	.bss,"aw",@nobits
	.globl	__hip_cuid_785d67a0c1cf0297
__hip_cuid_785d67a0c1cf0297:
	.byte	0                               ; 0x0
	.size	__hip_cuid_785d67a0c1cf0297, 1

	.ident	"AMD clang version 19.0.0git (https://github.com/RadeonOpenCompute/llvm-project roc-6.4.0 25133 c7fe45cf4b819c5991fe208aaa96edf142730f1d)"
	.section	".note.GNU-stack","",@progbits
	.addrsig
	.addrsig_sym __hip_cuid_785d67a0c1cf0297
	.amdgpu_metadata
---
amdhsa.kernels:
  - .args:
      - .actual_access:  read_only
        .address_space:  global
        .offset:         0
        .size:           8
        .value_kind:     global_buffer
      - .actual_access:  read_only
        .address_space:  global
        .offset:         8
        .size:           8
        .value_kind:     global_buffer
      - .actual_access:  read_only
        .address_space:  global
        .offset:         16
        .size:           8
        .value_kind:     global_buffer
      - .actual_access:  read_only
        .address_space:  global
        .offset:         24
        .size:           8
        .value_kind:     global_buffer
      - .actual_access:  read_only
        .address_space:  global
        .offset:         32
        .size:           8
        .value_kind:     global_buffer
      - .offset:         40
        .size:           8
        .value_kind:     by_value
      - .address_space:  global
        .offset:         48
        .size:           8
        .value_kind:     global_buffer
      - .address_space:  global
        .offset:         56
        .size:           8
        .value_kind:     global_buffer
      - .address_space:  global
        .offset:         64
        .size:           8
        .value_kind:     global_buffer
      - .address_space:  global
        .offset:         72
        .size:           8
        .value_kind:     global_buffer
      - .offset:         80
        .size:           4
        .value_kind:     by_value
      - .address_space:  global
        .offset:         88
        .size:           8
        .value_kind:     global_buffer
      - .address_space:  global
        .offset:         96
        .size:           8
        .value_kind:     global_buffer
    .group_segment_fixed_size: 16320
    .kernarg_segment_align: 8
    .kernarg_segment_size: 104
    .language:       OpenCL C
    .language_version:
      - 2
      - 0
    .max_flat_workgroup_size: 255
    .name:           bluestein_single_fwd_len1360_dim1_half_op_CI_CI
    .private_segment_fixed_size: 80
    .sgpr_count:     44
    .sgpr_spill_count: 0
    .symbol:         bluestein_single_fwd_len1360_dim1_half_op_CI_CI.kd
    .uniform_work_group_size: 1
    .uses_dynamic_stack: false
    .vgpr_count:     256
    .vgpr_spill_count: 19
    .wavefront_size: 64
amdhsa.target:   amdgcn-amd-amdhsa--gfx906
amdhsa.version:
  - 1
  - 2
...

	.end_amdgpu_metadata
